;; amdgpu-corpus repo=ROCm/rocFFT kind=compiled arch=gfx1201 opt=O3
	.text
	.amdgcn_target "amdgcn-amd-amdhsa--gfx1201"
	.amdhsa_code_object_version 6
	.protected	fft_rtc_back_len3000_factors_10_3_10_10_wgs_100_tpt_100_halfLds_sp_op_CI_CI_unitstride_sbrr_dirReg ; -- Begin function fft_rtc_back_len3000_factors_10_3_10_10_wgs_100_tpt_100_halfLds_sp_op_CI_CI_unitstride_sbrr_dirReg
	.globl	fft_rtc_back_len3000_factors_10_3_10_10_wgs_100_tpt_100_halfLds_sp_op_CI_CI_unitstride_sbrr_dirReg
	.p2align	8
	.type	fft_rtc_back_len3000_factors_10_3_10_10_wgs_100_tpt_100_halfLds_sp_op_CI_CI_unitstride_sbrr_dirReg,@function
fft_rtc_back_len3000_factors_10_3_10_10_wgs_100_tpt_100_halfLds_sp_op_CI_CI_unitstride_sbrr_dirReg: ; @fft_rtc_back_len3000_factors_10_3_10_10_wgs_100_tpt_100_halfLds_sp_op_CI_CI_unitstride_sbrr_dirReg
; %bb.0:
	s_clause 0x2
	s_load_b128 s[8:11], s[0:1], 0x0
	s_load_b128 s[4:7], s[0:1], 0x58
	;; [unrolled: 1-line block ×3, first 2 shown]
	v_mul_u32_u24_e32 v1, 0x290, v0
	v_mov_b32_e32 v16, 0
	v_mov_b32_e32 v17, 0
	s_delay_alu instid0(VALU_DEP_3) | instskip(SKIP_1) | instid1(VALU_DEP_1)
	v_lshrrev_b32_e32 v2, 16, v1
	v_mov_b32_e32 v1, 0
	v_dual_mov_b32 v4, v1 :: v_dual_add_nc_u32 v3, ttmp9, v2
	s_wait_kmcnt 0x0
	v_cmp_lt_u64_e64 s2, s[10:11], 2
	s_delay_alu instid0(VALU_DEP_1)
	s_and_b32 vcc_lo, exec_lo, s2
	s_cbranch_vccnz .LBB0_8
; %bb.1:
	s_load_b64 s[2:3], s[0:1], 0x10
	v_mov_b32_e32 v16, 0
	v_mov_b32_e32 v17, 0
	s_add_nc_u64 s[16:17], s[14:15], 8
	s_add_nc_u64 s[18:19], s[12:13], 8
	s_mov_b64 s[20:21], 1
	s_delay_alu instid0(VALU_DEP_1)
	v_dual_mov_b32 v37, v17 :: v_dual_mov_b32 v36, v16
	s_wait_kmcnt 0x0
	s_add_nc_u64 s[22:23], s[2:3], 8
	s_mov_b32 s3, 0
.LBB0_2:                                ; =>This Inner Loop Header: Depth=1
	s_load_b64 s[24:25], s[22:23], 0x0
                                        ; implicit-def: $vgpr32_vgpr33
	s_mov_b32 s2, exec_lo
	s_wait_kmcnt 0x0
	v_or_b32_e32 v2, s25, v4
	s_delay_alu instid0(VALU_DEP_1)
	v_cmpx_ne_u64_e32 0, v[1:2]
	s_wait_alu 0xfffe
	s_xor_b32 s26, exec_lo, s2
	s_cbranch_execz .LBB0_4
; %bb.3:                                ;   in Loop: Header=BB0_2 Depth=1
	s_cvt_f32_u32 s2, s24
	s_cvt_f32_u32 s27, s25
	s_sub_nc_u64 s[30:31], 0, s[24:25]
	s_wait_alu 0xfffe
	s_delay_alu instid0(SALU_CYCLE_1) | instskip(SKIP_1) | instid1(SALU_CYCLE_2)
	s_fmamk_f32 s2, s27, 0x4f800000, s2
	s_wait_alu 0xfffe
	v_s_rcp_f32 s2, s2
	s_delay_alu instid0(TRANS32_DEP_1) | instskip(SKIP_1) | instid1(SALU_CYCLE_2)
	s_mul_f32 s2, s2, 0x5f7ffffc
	s_wait_alu 0xfffe
	s_mul_f32 s27, s2, 0x2f800000
	s_wait_alu 0xfffe
	s_delay_alu instid0(SALU_CYCLE_2) | instskip(SKIP_1) | instid1(SALU_CYCLE_2)
	s_trunc_f32 s27, s27
	s_wait_alu 0xfffe
	s_fmamk_f32 s2, s27, 0xcf800000, s2
	s_cvt_u32_f32 s29, s27
	s_wait_alu 0xfffe
	s_delay_alu instid0(SALU_CYCLE_1) | instskip(SKIP_1) | instid1(SALU_CYCLE_2)
	s_cvt_u32_f32 s28, s2
	s_wait_alu 0xfffe
	s_mul_u64 s[34:35], s[30:31], s[28:29]
	s_wait_alu 0xfffe
	s_mul_hi_u32 s37, s28, s35
	s_mul_i32 s36, s28, s35
	s_mul_hi_u32 s2, s28, s34
	s_mul_i32 s33, s29, s34
	s_wait_alu 0xfffe
	s_add_nc_u64 s[36:37], s[2:3], s[36:37]
	s_mul_hi_u32 s27, s29, s34
	s_mul_hi_u32 s38, s29, s35
	s_add_co_u32 s2, s36, s33
	s_wait_alu 0xfffe
	s_add_co_ci_u32 s2, s37, s27
	s_mul_i32 s34, s29, s35
	s_add_co_ci_u32 s35, s38, 0
	s_wait_alu 0xfffe
	s_add_nc_u64 s[34:35], s[2:3], s[34:35]
	s_wait_alu 0xfffe
	v_add_co_u32 v2, s2, s28, s34
	s_delay_alu instid0(VALU_DEP_1) | instskip(SKIP_1) | instid1(VALU_DEP_1)
	s_cmp_lg_u32 s2, 0
	s_add_co_ci_u32 s29, s29, s35
	v_readfirstlane_b32 s28, v2
	s_wait_alu 0xfffe
	s_delay_alu instid0(VALU_DEP_1)
	s_mul_u64 s[30:31], s[30:31], s[28:29]
	s_wait_alu 0xfffe
	s_mul_hi_u32 s35, s28, s31
	s_mul_i32 s34, s28, s31
	s_mul_hi_u32 s2, s28, s30
	s_mul_i32 s33, s29, s30
	s_wait_alu 0xfffe
	s_add_nc_u64 s[34:35], s[2:3], s[34:35]
	s_mul_hi_u32 s27, s29, s30
	s_mul_hi_u32 s28, s29, s31
	s_wait_alu 0xfffe
	s_add_co_u32 s2, s34, s33
	s_add_co_ci_u32 s2, s35, s27
	s_mul_i32 s30, s29, s31
	s_add_co_ci_u32 s31, s28, 0
	s_wait_alu 0xfffe
	s_add_nc_u64 s[30:31], s[2:3], s[30:31]
	s_wait_alu 0xfffe
	v_add_co_u32 v2, s2, v2, s30
	s_delay_alu instid0(VALU_DEP_1) | instskip(SKIP_1) | instid1(VALU_DEP_1)
	s_cmp_lg_u32 s2, 0
	s_add_co_ci_u32 s2, s29, s31
	v_mul_hi_u32 v11, v3, v2
	s_wait_alu 0xfffe
	v_mad_co_u64_u32 v[5:6], null, v3, s2, 0
	v_mad_co_u64_u32 v[7:8], null, v4, v2, 0
	;; [unrolled: 1-line block ×3, first 2 shown]
	s_delay_alu instid0(VALU_DEP_3) | instskip(SKIP_1) | instid1(VALU_DEP_4)
	v_add_co_u32 v2, vcc_lo, v11, v5
	s_wait_alu 0xfffd
	v_add_co_ci_u32_e32 v5, vcc_lo, 0, v6, vcc_lo
	s_delay_alu instid0(VALU_DEP_2) | instskip(SKIP_1) | instid1(VALU_DEP_2)
	v_add_co_u32 v2, vcc_lo, v2, v7
	s_wait_alu 0xfffd
	v_add_co_ci_u32_e32 v2, vcc_lo, v5, v8, vcc_lo
	s_wait_alu 0xfffd
	v_add_co_ci_u32_e32 v5, vcc_lo, 0, v10, vcc_lo
	s_delay_alu instid0(VALU_DEP_2) | instskip(SKIP_1) | instid1(VALU_DEP_2)
	v_add_co_u32 v2, vcc_lo, v2, v9
	s_wait_alu 0xfffd
	v_add_co_ci_u32_e32 v7, vcc_lo, 0, v5, vcc_lo
	s_delay_alu instid0(VALU_DEP_2) | instskip(SKIP_1) | instid1(VALU_DEP_3)
	v_mul_lo_u32 v8, s25, v2
	v_mad_co_u64_u32 v[5:6], null, s24, v2, 0
	v_mul_lo_u32 v9, s24, v7
	s_delay_alu instid0(VALU_DEP_2) | instskip(NEXT) | instid1(VALU_DEP_2)
	v_sub_co_u32 v5, vcc_lo, v3, v5
	v_add3_u32 v6, v6, v9, v8
	s_delay_alu instid0(VALU_DEP_1) | instskip(SKIP_1) | instid1(VALU_DEP_1)
	v_sub_nc_u32_e32 v8, v4, v6
	s_wait_alu 0xfffd
	v_subrev_co_ci_u32_e64 v8, s2, s25, v8, vcc_lo
	v_add_co_u32 v9, s2, v2, 2
	s_wait_alu 0xf1ff
	v_add_co_ci_u32_e64 v10, s2, 0, v7, s2
	v_sub_co_u32 v11, s2, v5, s24
	v_sub_co_ci_u32_e32 v6, vcc_lo, v4, v6, vcc_lo
	s_wait_alu 0xf1ff
	v_subrev_co_ci_u32_e64 v8, s2, 0, v8, s2
	s_delay_alu instid0(VALU_DEP_3) | instskip(NEXT) | instid1(VALU_DEP_3)
	v_cmp_le_u32_e32 vcc_lo, s24, v11
	v_cmp_eq_u32_e64 s2, s25, v6
	s_wait_alu 0xfffd
	v_cndmask_b32_e64 v11, 0, -1, vcc_lo
	v_cmp_le_u32_e32 vcc_lo, s25, v8
	s_wait_alu 0xfffd
	v_cndmask_b32_e64 v12, 0, -1, vcc_lo
	v_cmp_le_u32_e32 vcc_lo, s24, v5
	;; [unrolled: 3-line block ×3, first 2 shown]
	s_wait_alu 0xfffd
	v_cndmask_b32_e64 v13, 0, -1, vcc_lo
	v_cmp_eq_u32_e32 vcc_lo, s25, v8
	s_wait_alu 0xf1ff
	s_delay_alu instid0(VALU_DEP_2)
	v_cndmask_b32_e64 v5, v13, v5, s2
	s_wait_alu 0xfffd
	v_cndmask_b32_e32 v8, v12, v11, vcc_lo
	v_add_co_u32 v11, vcc_lo, v2, 1
	s_wait_alu 0xfffd
	v_add_co_ci_u32_e32 v12, vcc_lo, 0, v7, vcc_lo
	s_delay_alu instid0(VALU_DEP_3) | instskip(SKIP_1) | instid1(VALU_DEP_2)
	v_cmp_ne_u32_e32 vcc_lo, 0, v8
	s_wait_alu 0xfffd
	v_cndmask_b32_e32 v6, v12, v10, vcc_lo
	v_cndmask_b32_e32 v8, v11, v9, vcc_lo
	v_cmp_ne_u32_e32 vcc_lo, 0, v5
	s_wait_alu 0xfffd
	s_delay_alu instid0(VALU_DEP_2)
	v_dual_cndmask_b32 v33, v7, v6 :: v_dual_cndmask_b32 v32, v2, v8
.LBB0_4:                                ;   in Loop: Header=BB0_2 Depth=1
	s_wait_alu 0xfffe
	s_and_not1_saveexec_b32 s2, s26
	s_cbranch_execz .LBB0_6
; %bb.5:                                ;   in Loop: Header=BB0_2 Depth=1
	v_cvt_f32_u32_e32 v2, s24
	s_sub_co_i32 s26, 0, s24
	v_mov_b32_e32 v33, v1
	s_delay_alu instid0(VALU_DEP_2) | instskip(NEXT) | instid1(TRANS32_DEP_1)
	v_rcp_iflag_f32_e32 v2, v2
	v_mul_f32_e32 v2, 0x4f7ffffe, v2
	s_delay_alu instid0(VALU_DEP_1) | instskip(SKIP_1) | instid1(VALU_DEP_1)
	v_cvt_u32_f32_e32 v2, v2
	s_wait_alu 0xfffe
	v_mul_lo_u32 v5, s26, v2
	s_delay_alu instid0(VALU_DEP_1) | instskip(NEXT) | instid1(VALU_DEP_1)
	v_mul_hi_u32 v5, v2, v5
	v_add_nc_u32_e32 v2, v2, v5
	s_delay_alu instid0(VALU_DEP_1) | instskip(NEXT) | instid1(VALU_DEP_1)
	v_mul_hi_u32 v2, v3, v2
	v_mul_lo_u32 v5, v2, s24
	v_add_nc_u32_e32 v6, 1, v2
	s_delay_alu instid0(VALU_DEP_2) | instskip(NEXT) | instid1(VALU_DEP_1)
	v_sub_nc_u32_e32 v5, v3, v5
	v_subrev_nc_u32_e32 v7, s24, v5
	v_cmp_le_u32_e32 vcc_lo, s24, v5
	s_wait_alu 0xfffd
	s_delay_alu instid0(VALU_DEP_2) | instskip(NEXT) | instid1(VALU_DEP_1)
	v_dual_cndmask_b32 v5, v5, v7 :: v_dual_cndmask_b32 v2, v2, v6
	v_cmp_le_u32_e32 vcc_lo, s24, v5
	s_delay_alu instid0(VALU_DEP_2) | instskip(SKIP_1) | instid1(VALU_DEP_1)
	v_add_nc_u32_e32 v6, 1, v2
	s_wait_alu 0xfffd
	v_cndmask_b32_e32 v32, v2, v6, vcc_lo
.LBB0_6:                                ;   in Loop: Header=BB0_2 Depth=1
	s_wait_alu 0xfffe
	s_or_b32 exec_lo, exec_lo, s2
	v_mul_lo_u32 v2, v33, s24
	s_delay_alu instid0(VALU_DEP_2)
	v_mul_lo_u32 v7, v32, s25
	s_load_b64 s[26:27], s[18:19], 0x0
	v_mad_co_u64_u32 v[5:6], null, v32, s24, 0
	s_load_b64 s[24:25], s[16:17], 0x0
	s_add_nc_u64 s[20:21], s[20:21], 1
	s_add_nc_u64 s[16:17], s[16:17], 8
	s_wait_alu 0xfffe
	v_cmp_ge_u64_e64 s2, s[20:21], s[10:11]
	s_add_nc_u64 s[18:19], s[18:19], 8
	s_add_nc_u64 s[22:23], s[22:23], 8
	v_add3_u32 v2, v6, v7, v2
	v_sub_co_u32 v3, vcc_lo, v3, v5
	s_wait_alu 0xfffd
	s_delay_alu instid0(VALU_DEP_2) | instskip(SKIP_2) | instid1(VALU_DEP_1)
	v_sub_co_ci_u32_e32 v2, vcc_lo, v4, v2, vcc_lo
	s_and_b32 vcc_lo, exec_lo, s2
	s_wait_kmcnt 0x0
	v_mul_lo_u32 v4, s26, v2
	v_mul_lo_u32 v5, s27, v3
	v_mad_co_u64_u32 v[16:17], null, s26, v3, v[16:17]
	v_mul_lo_u32 v2, s24, v2
	v_mul_lo_u32 v6, s25, v3
	v_mad_co_u64_u32 v[36:37], null, s24, v3, v[36:37]
	s_delay_alu instid0(VALU_DEP_4) | instskip(NEXT) | instid1(VALU_DEP_2)
	v_add3_u32 v17, v5, v17, v4
	v_add3_u32 v37, v6, v37, v2
	s_wait_alu 0xfffe
	s_cbranch_vccnz .LBB0_9
; %bb.7:                                ;   in Loop: Header=BB0_2 Depth=1
	v_dual_mov_b32 v3, v32 :: v_dual_mov_b32 v4, v33
	s_branch .LBB0_2
.LBB0_8:
	v_dual_mov_b32 v37, v17 :: v_dual_mov_b32 v36, v16
	v_dual_mov_b32 v33, v4 :: v_dual_mov_b32 v32, v3
.LBB0_9:
	s_load_b64 s[0:1], s[0:1], 0x28
	v_mul_hi_u32 v2, 0x28f5c29, v0
	s_lshl_b64 s[10:11], s[10:11], 3
                                        ; implicit-def: $vgpr102
	s_wait_kmcnt 0x0
	v_cmp_gt_u64_e32 vcc_lo, s[0:1], v[32:33]
	v_cmp_le_u64_e64 s0, s[0:1], v[32:33]
	s_delay_alu instid0(VALU_DEP_1)
	s_and_saveexec_b32 s1, s0
	s_wait_alu 0xfffe
	s_xor_b32 s0, exec_lo, s1
; %bb.10:
	v_mul_u32_u24_e32 v1, 0x64, v2
                                        ; implicit-def: $vgpr2
                                        ; implicit-def: $vgpr16_vgpr17
	s_delay_alu instid0(VALU_DEP_1)
	v_sub_nc_u32_e32 v102, v0, v1
                                        ; implicit-def: $vgpr0
; %bb.11:
	s_wait_alu 0xfffe
	s_or_saveexec_b32 s1, s0
	s_add_nc_u64 s[2:3], s[14:15], s[10:11]
                                        ; implicit-def: $vgpr5
                                        ; implicit-def: $vgpr29
                                        ; implicit-def: $vgpr7
                                        ; implicit-def: $vgpr27
                                        ; implicit-def: $vgpr9
                                        ; implicit-def: $vgpr23
                                        ; implicit-def: $vgpr11
                                        ; implicit-def: $vgpr21
                                        ; implicit-def: $vgpr3
                                        ; implicit-def: $vgpr1
                                        ; implicit-def: $vgpr45
                                        ; implicit-def: $vgpr63
                                        ; implicit-def: $vgpr47
                                        ; implicit-def: $vgpr61
                                        ; implicit-def: $vgpr39
                                        ; implicit-def: $vgpr59
                                        ; implicit-def: $vgpr49
                                        ; implicit-def: $vgpr57
                                        ; implicit-def: $vgpr35
                                        ; implicit-def: $vgpr31
                                        ; implicit-def: $vgpr18
                                        ; implicit-def: $vgpr53
                                        ; implicit-def: $vgpr41
                                        ; implicit-def: $vgpr65
                                        ; implicit-def: $vgpr25
                                        ; implicit-def: $vgpr51
                                        ; implicit-def: $vgpr43
                                        ; implicit-def: $vgpr55
                                        ; implicit-def: $vgpr15
                                        ; implicit-def: $vgpr13
	s_wait_alu 0xfffe
	s_xor_b32 exec_lo, exec_lo, s1
	s_cbranch_execz .LBB0_13
; %bb.12:
	s_add_nc_u64 s[10:11], s[12:13], s[10:11]
	s_load_b64 s[10:11], s[10:11], 0x0
	s_wait_kmcnt 0x0
	v_mul_lo_u32 v1, s11, v32
	v_mul_lo_u32 v5, s10, v33
	v_mad_co_u64_u32 v[3:4], null, s10, v32, 0
	s_delay_alu instid0(VALU_DEP_1) | instskip(SKIP_1) | instid1(VALU_DEP_2)
	v_add3_u32 v4, v4, v5, v1
	v_mul_u32_u24_e32 v5, 0x64, v2
	v_lshlrev_b64_e32 v[1:2], 3, v[3:4]
	v_lshlrev_b64_e32 v[3:4], 3, v[16:17]
	s_delay_alu instid0(VALU_DEP_3) | instskip(NEXT) | instid1(VALU_DEP_3)
	v_sub_nc_u32_e32 v102, v0, v5
	v_add_co_u32 v0, s0, s4, v1
	s_wait_alu 0xf1ff
	s_delay_alu instid0(VALU_DEP_4) | instskip(NEXT) | instid1(VALU_DEP_3)
	v_add_co_ci_u32_e64 v1, s0, s5, v2, s0
	v_lshlrev_b32_e32 v2, 3, v102
	s_delay_alu instid0(VALU_DEP_3) | instskip(SKIP_1) | instid1(VALU_DEP_3)
	v_add_co_u32 v0, s0, v0, v3
	s_wait_alu 0xf1ff
	v_add_co_ci_u32_e64 v1, s0, v1, v4, s0
	s_delay_alu instid0(VALU_DEP_2) | instskip(SKIP_1) | instid1(VALU_DEP_2)
	v_add_co_u32 v4, s0, v0, v2
	s_wait_alu 0xf1ff
	v_add_co_ci_u32_e64 v5, s0, 0, v1, s0
	s_clause 0x1d
	global_load_b64 v[12:13], v[4:5], off
	global_load_b64 v[30:31], v[4:5], off offset:800
	global_load_b64 v[34:35], v[4:5], off offset:3200
	;; [unrolled: 1-line block ×29, first 2 shown]
.LBB0_13:
	s_or_b32 exec_lo, exec_lo, s1
	s_wait_loadcnt 0x9
	v_dual_add_f32 v16, v64, v50 :: v_dual_add_f32 v19, v54, v12
	v_dual_sub_f32 v66, v55, v53 :: v_dual_sub_f32 v69, v52, v64
	v_sub_f32_e32 v67, v51, v65
	s_delay_alu instid0(VALU_DEP_3) | instskip(SKIP_3) | instid1(VALU_DEP_3)
	v_fma_f32 v68, -0.5, v16, v12
	v_sub_f32_e32 v16, v54, v50
	v_dual_add_f32 v70, v52, v54 :: v_dual_add_f32 v19, v50, v19
	v_sub_f32_e32 v72, v50, v54
	v_dual_fmamk_f32 v71, v66, 0xbf737871, v68 :: v_dual_add_f32 v16, v69, v16
	v_dual_fmac_f32 v68, 0x3f737871, v66 :: v_dual_sub_f32 v69, v64, v52
	s_delay_alu instid0(VALU_DEP_2) | instskip(SKIP_1) | instid1(VALU_DEP_3)
	v_dual_fmac_f32 v12, -0.5, v70 :: v_dual_fmac_f32 v71, 0xbf167918, v67
	v_add_f32_e32 v19, v64, v19
	v_dual_fmac_f32 v68, 0x3f167918, v67 :: v_dual_add_f32 v73, v55, v13
	s_delay_alu instid0(VALU_DEP_3) | instskip(NEXT) | instid1(VALU_DEP_4)
	v_fmamk_f32 v70, v67, 0x3f737871, v12
	v_dual_fmac_f32 v71, 0x3e9e377a, v16 :: v_dual_add_f32 v74, v65, v51
	s_delay_alu instid0(VALU_DEP_4) | instskip(NEXT) | instid1(VALU_DEP_4)
	v_add_f32_e32 v19, v52, v19
	v_dual_fmac_f32 v12, 0xbf737871, v67 :: v_dual_add_f32 v67, v51, v73
	v_sub_f32_e32 v52, v54, v52
	v_add_f32_e32 v54, v53, v55
	v_dual_fmac_f32 v70, 0xbf167918, v66 :: v_dual_add_f32 v69, v69, v72
	v_fma_f32 v72, -0.5, v74, v13
	s_delay_alu instid0(VALU_DEP_3)
	v_dual_fmac_f32 v68, 0x3e9e377a, v16 :: v_dual_fmac_f32 v13, -0.5, v54
	v_fmac_f32_e32 v12, 0x3f167918, v66
	v_sub_f32_e32 v50, v50, v64
	v_add_f32_e32 v16, v65, v67
	v_fmac_f32_e32 v70, 0x3e9e377a, v69
	v_dual_sub_f32 v67, v53, v65 :: v_dual_fmamk_f32 v66, v52, 0x3f737871, v72
	v_sub_f32_e32 v64, v55, v51
	v_dual_sub_f32 v51, v51, v55 :: v_dual_fmac_f32 v12, 0x3e9e377a, v69
	v_add_f32_e32 v69, v53, v16
	v_dual_sub_f32 v53, v65, v53 :: v_dual_fmac_f32 v72, 0xbf737871, v52
	s_wait_loadcnt 0x3
	v_dual_add_f32 v54, v42, v14 :: v_dual_sub_f32 v55, v17, v40
	v_sub_f32_e32 v73, v40, v17
	s_delay_alu instid0(VALU_DEP_3) | instskip(SKIP_3) | instid1(VALU_DEP_3)
	v_dual_add_f32 v51, v53, v51 :: v_dual_add_f32 v16, v67, v64
	v_fmamk_f32 v64, v50, 0xbf737871, v13
	v_fmac_f32_e32 v13, 0x3f737871, v50
	v_dual_fmac_f32 v66, 0x3f167918, v50 :: v_dual_add_f32 v53, v40, v24
	v_dual_sub_f32 v67, v24, v42 :: v_dual_fmac_f32 v64, 0x3f167918, v52
	s_delay_alu instid0(VALU_DEP_3) | instskip(SKIP_1) | instid1(VALU_DEP_3)
	v_fmac_f32_e32 v13, 0xbf167918, v52
	s_load_b64 s[0:1], s[2:3], 0x0
	v_fma_f32 v52, -0.5, v53, v14
	v_sub_f32_e32 v53, v43, v18
	v_fmac_f32_e32 v72, 0xbf167918, v50
	v_dual_add_f32 v50, v24, v54 :: v_dual_fmac_f32 v13, 0x3e9e377a, v51
	v_fmac_f32_e32 v66, 0x3e9e377a, v16
	v_sub_f32_e32 v54, v42, v24
	s_delay_alu instid0(VALU_DEP_4) | instskip(NEXT) | instid1(VALU_DEP_4)
	v_fmac_f32_e32 v72, 0x3e9e377a, v16
	v_add_f32_e32 v16, v40, v50
	v_sub_f32_e32 v24, v24, v40
	v_add_f32_e32 v50, v17, v42
	v_dual_add_f32 v54, v55, v54 :: v_dual_add_f32 v55, v73, v67
	s_delay_alu instid0(VALU_DEP_4)
	v_dual_fmac_f32 v64, 0x3e9e377a, v51 :: v_dual_add_f32 v51, v17, v16
	v_sub_f32_e32 v17, v42, v17
	v_sub_f32_e32 v16, v25, v41
	v_fmac_f32_e32 v14, -0.5, v50
	v_add_f32_e32 v42, v43, v15
	v_dual_sub_f32 v40, v43, v25 :: v_dual_sub_f32 v67, v41, v18
	v_fmamk_f32 v50, v53, 0xbf737871, v52
	s_delay_alu instid0(VALU_DEP_4) | instskip(SKIP_2) | instid1(VALU_DEP_3)
	v_fmamk_f32 v65, v16, 0x3f737871, v14
	v_fmac_f32_e32 v14, 0xbf737871, v16
	v_fmac_f32_e32 v52, 0x3f737871, v53
	;; [unrolled: 1-line block ×3, first 2 shown]
	s_delay_alu instid0(VALU_DEP_3) | instskip(NEXT) | instid1(VALU_DEP_3)
	v_dual_fmac_f32 v14, 0x3f167918, v53 :: v_dual_add_f32 v53, v18, v43
	v_dual_sub_f32 v43, v25, v43 :: v_dual_fmac_f32 v52, 0x3f167918, v16
	s_delay_alu instid0(VALU_DEP_3) | instskip(NEXT) | instid1(VALU_DEP_3)
	v_fmac_f32_e32 v65, 0x3e9e377a, v55
	v_fmac_f32_e32 v14, 0x3e9e377a, v55
	s_delay_alu instid0(VALU_DEP_3) | instskip(SKIP_1) | instid1(VALU_DEP_1)
	v_dual_add_f32 v43, v67, v43 :: v_dual_fmac_f32 v50, 0xbf167918, v16
	v_add_f32_e32 v16, v41, v25
	v_fma_f32 v16, -0.5, v16, v15
	v_fmac_f32_e32 v15, -0.5, v53
	s_delay_alu instid0(VALU_DEP_2) | instskip(NEXT) | instid1(VALU_DEP_2)
	v_fmamk_f32 v53, v17, 0x3f737871, v16
	v_fmamk_f32 v55, v24, 0xbf737871, v15
	v_fmac_f32_e32 v15, 0x3f737871, v24
	v_fmac_f32_e32 v16, 0xbf737871, v17
	s_delay_alu instid0(VALU_DEP_3) | instskip(NEXT) | instid1(VALU_DEP_3)
	v_fmac_f32_e32 v55, 0x3f167918, v17
	v_fmac_f32_e32 v15, 0xbf167918, v17
	v_add_f32_e32 v17, v25, v42
	s_delay_alu instid0(VALU_DEP_3) | instskip(NEXT) | instid1(VALU_DEP_3)
	v_fmac_f32_e32 v55, 0x3e9e377a, v43
	v_fmac_f32_e32 v15, 0x3e9e377a, v43
	s_delay_alu instid0(VALU_DEP_3) | instskip(NEXT) | instid1(VALU_DEP_3)
	v_add_f32_e32 v17, v41, v17
	v_mul_f32_e32 v25, 0xbf737871, v55
	v_fmac_f32_e32 v53, 0x3f167918, v24
	v_fmac_f32_e32 v52, 0x3e9e377a, v54
	v_fmac_f32_e32 v50, 0x3e9e377a, v54
	v_mul_f32_e32 v67, 0xbf737871, v15
	v_add_f32_e32 v73, v18, v17
	v_sub_f32_e32 v54, v18, v41
	v_fmac_f32_e32 v25, 0x3e9e377a, v65
	v_mul_f32_e32 v65, 0x3f737871, v65
	v_dual_fmac_f32 v67, 0xbe9e377a, v14 :: v_dual_mul_f32 v76, 0xbe9e377a, v15
	s_delay_alu instid0(VALU_DEP_2) | instskip(NEXT) | instid1(VALU_DEP_2)
	v_dual_add_f32 v40, v54, v40 :: v_dual_fmac_f32 v65, 0x3e9e377a, v55
	v_dual_add_f32 v43, v12, v67 :: v_dual_fmac_f32 v76, 0x3f737871, v14
	s_delay_alu instid0(VALU_DEP_2) | instskip(SKIP_1) | instid1(VALU_DEP_3)
	v_dual_fmac_f32 v53, 0x3e9e377a, v40 :: v_dual_add_f32 v42, v70, v25
	v_dual_mul_f32 v75, 0x3f167918, v50 :: v_dual_add_f32 v14, v73, v69
	v_add_f32_e32 v17, v13, v76
	v_sub_f32_e32 v55, v70, v25
	v_sub_f32_e32 v25, v64, v65
	s_delay_alu instid0(VALU_DEP_4) | instskip(SKIP_1) | instid1(VALU_DEP_2)
	v_fmac_f32_e32 v75, 0x3f4f1bbd, v53
	v_fmac_f32_e32 v16, 0xbf167918, v24
	v_dual_mul_f32 v24, 0xbf167918, v53 :: v_dual_add_f32 v15, v66, v75
	s_delay_alu instid0(VALU_DEP_2) | instskip(NEXT) | instid1(VALU_DEP_2)
	v_fmac_f32_e32 v16, 0x3e9e377a, v40
	v_fmac_f32_e32 v24, 0x3f4f1bbd, v50
	v_add_f32_e32 v40, v51, v19
	v_sub_f32_e32 v51, v19, v51
	v_add_f32_e32 v19, v60, v58
	v_mul_f32_e32 v77, 0xbf4f1bbd, v16
	v_mul_f32_e32 v74, 0xbf167918, v16
	v_dual_add_f32 v41, v71, v24 :: v_dual_add_f32 v16, v64, v65
	v_sub_f32_e32 v54, v71, v24
	v_add_f32_e32 v71, v62, v56
	s_delay_alu instid0(VALU_DEP_4)
	v_fmac_f32_e32 v74, 0xbf4f1bbd, v52
	v_fmac_f32_e32 v77, 0x3f167918, v52
	v_sub_f32_e32 v70, v62, v60
	v_sub_f32_e32 v52, v12, v67
	v_fma_f32 v67, -0.5, v19, v30
	v_add_f32_e32 v50, v68, v74
	v_dual_sub_f32 v53, v68, v74 :: v_dual_sub_f32 v68, v57, v63
	v_dual_add_f32 v12, v56, v30 :: v_dual_sub_f32 v19, v69, v73
	v_sub_f32_e32 v24, v66, v75
	s_delay_alu instid0(VALU_DEP_3)
	v_dual_sub_f32 v66, v59, v61 :: v_dual_fmamk_f32 v65, v68, 0xbf737871, v67
	v_sub_f32_e32 v69, v56, v58
	v_fmac_f32_e32 v67, 0x3f737871, v68
	v_add_f32_e32 v64, v58, v12
	v_dual_fmac_f32 v30, -0.5, v71 :: v_dual_sub_f32 v71, v58, v56
	v_dual_add_f32 v18, v72, v77 :: v_dual_fmac_f32 v65, 0xbf167918, v66
	v_sub_f32_e32 v12, v13, v76
	s_delay_alu instid0(VALU_DEP_4) | instskip(SKIP_3) | instid1(VALU_DEP_4)
	v_dual_add_f32 v64, v60, v64 :: v_dual_fmac_f32 v67, 0x3f167918, v66
	v_sub_f32_e32 v13, v72, v77
	v_dual_add_f32 v69, v70, v69 :: v_dual_sub_f32 v72, v60, v62
	v_sub_f32_e32 v58, v58, v60
	v_dual_add_f32 v64, v62, v64 :: v_dual_add_f32 v73, v57, v31
	s_delay_alu instid0(VALU_DEP_3)
	v_fmac_f32_e32 v65, 0x3e9e377a, v69
	v_fmac_f32_e32 v67, 0x3e9e377a, v69
	v_dual_sub_f32 v69, v63, v61 :: v_dual_fmamk_f32 v70, v66, 0x3f737871, v30
	v_dual_add_f32 v71, v72, v71 :: v_dual_fmac_f32 v30, 0xbf737871, v66
	v_sub_f32_e32 v60, v57, v59
	v_add_f32_e32 v66, v59, v73
	s_delay_alu instid0(VALU_DEP_4)
	v_fmac_f32_e32 v70, 0xbf167918, v68
	s_wait_loadcnt 0x1
	v_sub_f32_e32 v73, v46, v44
	v_fmac_f32_e32 v30, 0x3f167918, v68
	v_add_f32_e32 v68, v63, v57
	v_add_f32_e32 v74, v61, v59
	v_dual_add_f32 v60, v69, v60 :: v_dual_sub_f32 v57, v59, v57
	v_dual_sub_f32 v59, v61, v63 :: v_dual_sub_f32 v56, v56, v62
	s_delay_alu instid0(VALU_DEP_3) | instskip(SKIP_1) | instid1(VALU_DEP_3)
	v_fma_f32 v72, -0.5, v74, v31
	v_dual_fmac_f32 v31, -0.5, v68 :: v_dual_fmac_f32 v70, 0x3e9e377a, v71
	v_add_f32_e32 v57, v59, v57
	v_add_f32_e32 v59, v46, v38
	s_delay_alu instid0(VALU_DEP_3) | instskip(SKIP_1) | instid1(VALU_DEP_2)
	v_dual_fmamk_f32 v69, v58, 0xbf737871, v31 :: v_dual_add_f32 v62, v61, v66
	v_add_f32_e32 v61, v48, v34
	v_fmac_f32_e32 v69, 0x3f167918, v56
	s_delay_alu instid0(VALU_DEP_1) | instskip(SKIP_2) | instid1(VALU_DEP_2)
	v_fmac_f32_e32 v69, 0x3e9e377a, v57
	v_dual_fmamk_f32 v66, v56, 0x3f737871, v72 :: v_dual_fmac_f32 v31, 0x3f737871, v58
	v_fmac_f32_e32 v72, 0xbf737871, v56
	v_fmac_f32_e32 v66, 0x3f167918, v58
	s_delay_alu instid0(VALU_DEP_2) | instskip(SKIP_2) | instid1(VALU_DEP_3)
	v_dual_fmac_f32 v31, 0xbf167918, v56 :: v_dual_fmac_f32 v72, 0xbf167918, v58
	v_add_f32_e32 v58, v38, v61
	v_dual_fmac_f32 v30, 0x3e9e377a, v71 :: v_dual_sub_f32 v61, v48, v38
	v_fmac_f32_e32 v31, 0x3e9e377a, v57
	v_sub_f32_e32 v71, v38, v48
	s_delay_alu instid0(VALU_DEP_4) | instskip(SKIP_4) | instid1(VALU_DEP_3)
	v_add_f32_e32 v56, v46, v58
	v_add_f32_e32 v68, v63, v62
	v_sub_f32_e32 v62, v44, v46
	v_fma_f32 v58, -0.5, v59, v34
	v_dual_add_f32 v59, v44, v48 :: v_dual_sub_f32 v38, v38, v46
	v_dual_add_f32 v61, v62, v61 :: v_dual_fmac_f32 v66, 0x3e9e377a, v60
	v_add_f32_e32 v62, v73, v71
	v_fmac_f32_e32 v72, 0x3e9e377a, v60
	v_sub_f32_e32 v60, v49, v45
	v_fmac_f32_e32 v34, -0.5, v59
	s_delay_alu instid0(VALU_DEP_2) | instskip(SKIP_2) | instid1(VALU_DEP_2)
	v_fmamk_f32 v59, v60, 0xbf737871, v58
	v_dual_add_f32 v57, v44, v56 :: v_dual_sub_f32 v56, v39, v47
	v_sub_f32_e32 v44, v48, v44
	v_dual_add_f32 v48, v49, v35 :: v_dual_fmamk_f32 v63, v56, 0x3f737871, v34
	s_delay_alu instid0(VALU_DEP_4) | instskip(SKIP_1) | instid1(VALU_DEP_3)
	v_fmac_f32_e32 v59, 0xbf167918, v56
	v_fmac_f32_e32 v58, 0x3f737871, v60
	;; [unrolled: 1-line block ×4, first 2 shown]
	s_delay_alu instid0(VALU_DEP_4) | instskip(NEXT) | instid1(VALU_DEP_3)
	v_fmac_f32_e32 v59, 0x3e9e377a, v61
	v_fmac_f32_e32 v63, 0x3e9e377a, v62
	s_delay_alu instid0(VALU_DEP_3) | instskip(NEXT) | instid1(VALU_DEP_2)
	v_fmac_f32_e32 v34, 0x3f167918, v60
	v_dual_add_f32 v60, v45, v49 :: v_dual_mul_f32 v77, 0x3f737871, v63
	s_delay_alu instid0(VALU_DEP_2) | instskip(SKIP_3) | instid1(VALU_DEP_1)
	v_fmac_f32_e32 v34, 0x3e9e377a, v62
	v_sub_f32_e32 v62, v47, v45
	v_fmac_f32_e32 v58, 0x3f167918, v56
	v_add_f32_e32 v56, v47, v39
	v_fma_f32 v56, -0.5, v56, v35
	v_dual_fmac_f32 v35, -0.5, v60 :: v_dual_sub_f32 v60, v49, v39
	v_sub_f32_e32 v49, v39, v49
	s_delay_alu instid0(VALU_DEP_2) | instskip(SKIP_1) | instid1(VALU_DEP_3)
	v_fmamk_f32 v71, v38, 0xbf737871, v35
	v_fmac_f32_e32 v35, 0x3f737871, v38
	v_add_f32_e32 v49, v62, v49
	s_delay_alu instid0(VALU_DEP_3) | instskip(NEXT) | instid1(VALU_DEP_1)
	v_fmac_f32_e32 v71, 0x3f167918, v44
	v_fmac_f32_e32 v71, 0x3e9e377a, v49
	s_delay_alu instid0(VALU_DEP_4) | instskip(SKIP_2) | instid1(VALU_DEP_4)
	v_fmac_f32_e32 v35, 0xbf167918, v44
	v_dual_fmac_f32 v58, 0x3e9e377a, v61 :: v_dual_add_f32 v39, v39, v48
	v_fmamk_f32 v46, v44, 0x3f737871, v56
	v_mul_f32_e32 v73, 0xbf737871, v71
	s_delay_alu instid0(VALU_DEP_4) | instskip(SKIP_1) | instid1(VALU_DEP_4)
	v_fmac_f32_e32 v35, 0x3e9e377a, v49
	v_dual_sub_f32 v61, v45, v47 :: v_dual_fmac_f32 v56, 0xbf737871, v44
	v_fmac_f32_e32 v46, 0x3f167918, v38
	s_delay_alu instid0(VALU_DEP_4) | instskip(NEXT) | instid1(VALU_DEP_4)
	v_fmac_f32_e32 v73, 0x3e9e377a, v63
	v_mul_f32_e32 v78, 0xbe9e377a, v35
	v_fmac_f32_e32 v77, 0x3e9e377a, v71
	v_dual_fmac_f32 v56, 0xbf167918, v38 :: v_dual_sub_f32 v63, v64, v57
	s_delay_alu instid0(VALU_DEP_3) | instskip(SKIP_1) | instid1(VALU_DEP_2)
	v_fmac_f32_e32 v78, 0x3f737871, v34
	v_dual_mul_f32 v74, 0xbf737871, v35 :: v_dual_sub_f32 v35, v70, v73
	v_add_f32_e32 v49, v31, v78
	s_delay_alu instid0(VALU_DEP_2) | instskip(NEXT) | instid1(VALU_DEP_1)
	v_fmac_f32_e32 v74, 0xbe9e377a, v34
	v_dual_add_f32 v60, v61, v60 :: v_dual_add_f32 v61, v30, v74
	s_delay_alu instid0(VALU_DEP_1) | instskip(SKIP_1) | instid1(VALU_DEP_2)
	v_fmac_f32_e32 v46, 0x3e9e377a, v60
	v_fmac_f32_e32 v56, 0x3e9e377a, v60
	v_dual_add_f32 v38, v47, v39 :: v_dual_mul_f32 v47, 0xbf167918, v46
	s_delay_alu instid0(VALU_DEP_2) | instskip(NEXT) | instid1(VALU_DEP_2)
	v_mul_f32_e32 v79, 0xbf4f1bbd, v56
	v_dual_add_f32 v75, v45, v38 :: v_dual_mul_f32 v76, 0xbf167918, v56
	s_delay_alu instid0(VALU_DEP_3) | instskip(NEXT) | instid1(VALU_DEP_3)
	v_dual_add_f32 v60, v70, v73 :: v_dual_fmac_f32 v47, 0x3f4f1bbd, v59
	v_fmac_f32_e32 v79, 0x3f167918, v58
	v_dual_mul_f32 v59, 0x3f167918, v59 :: v_dual_add_f32 v38, v57, v64
	s_delay_alu instid0(VALU_DEP_4) | instskip(NEXT) | instid1(VALU_DEP_4)
	v_dual_fmac_f32 v76, 0xbf4f1bbd, v58 :: v_dual_sub_f32 v57, v68, v75
	v_add_f32_e32 v39, v65, v47
	s_delay_alu instid0(VALU_DEP_3)
	v_dual_fmac_f32 v59, 0x3f4f1bbd, v46 :: v_dual_add_f32 v44, v75, v68
	v_dual_sub_f32 v34, v65, v47 :: v_dual_sub_f32 v47, v20, v22
	v_sub_f32_e32 v68, v28, v26
	v_add_f32_e32 v46, v26, v22
	v_add_f32_e32 v62, v67, v76
	v_sub_f32_e32 v65, v67, v76
	v_sub_f32_e32 v67, v21, v29
	v_add_f32_e32 v45, v66, v59
	v_fma_f32 v70, -0.5, v46, v0
	v_add_f32_e32 v48, v69, v77
	v_dual_sub_f32 v58, v66, v59 :: v_dual_add_f32 v73, v21, v1
	v_sub_f32_e32 v59, v69, v77
	s_delay_alu instid0(VALU_DEP_4) | instskip(SKIP_4) | instid1(VALU_DEP_4)
	v_fmamk_f32 v71, v67, 0xbf737871, v70
	v_dual_sub_f32 v66, v23, v27 :: v_dual_add_f32 v69, v28, v20
	v_add_f32_e32 v56, v72, v79
	v_sub_f32_e32 v64, v30, v74
	v_sub_f32_e32 v46, v31, v78
	v_fmac_f32_e32 v71, 0xbf167918, v66
	v_add_f32_e32 v31, v68, v47
	v_add_f32_e32 v30, v20, v0
	v_fmac_f32_e32 v0, -0.5, v69
	v_fmac_f32_e32 v70, 0x3f737871, v67
	v_add_f32_e32 v74, v27, v23
	v_sub_f32_e32 v47, v72, v79
	v_fmac_f32_e32 v71, 0x3e9e377a, v31
	v_fmamk_f32 v72, v66, 0x3f737871, v0
	v_sub_f32_e32 v68, v22, v20
	v_fmac_f32_e32 v70, 0x3f167918, v66
	v_fmac_f32_e32 v0, 0xbf737871, v66
	v_add_f32_e32 v66, v23, v73
	v_fma_f32 v73, -0.5, v74, v1
	v_sub_f32_e32 v20, v20, v28
	v_add_f32_e32 v30, v22, v30
	v_dual_fmac_f32 v70, 0x3e9e377a, v31 :: v_dual_sub_f32 v69, v26, v28
	s_delay_alu instid0(VALU_DEP_3) | instskip(NEXT) | instid1(VALU_DEP_3)
	v_dual_sub_f32 v22, v22, v26 :: v_dual_fmamk_f32 v31, v20, 0x3f737871, v73
	v_add_f32_e32 v30, v26, v30
	s_delay_alu instid0(VALU_DEP_2) | instskip(NEXT) | instid1(VALU_DEP_2)
	v_dual_sub_f32 v26, v21, v23 :: v_dual_fmac_f32 v31, 0x3f167918, v22
	v_add_f32_e32 v30, v28, v30
	v_add_f32_e32 v28, v27, v66
	;; [unrolled: 1-line block ×3, first 2 shown]
	v_sub_f32_e32 v21, v23, v21
	v_sub_f32_e32 v23, v27, v29
	s_delay_alu instid0(VALU_DEP_3) | instskip(NEXT) | instid1(VALU_DEP_2)
	v_fmac_f32_e32 v1, -0.5, v66
	v_add_f32_e32 v21, v23, v21
	v_add_f32_e32 v23, v6, v8
	s_delay_alu instid0(VALU_DEP_3) | instskip(SKIP_1) | instid1(VALU_DEP_1)
	v_fmamk_f32 v74, v22, 0xbf737871, v1
	v_fmac_f32_e32 v1, 0x3f737871, v22
	v_dual_fmac_f32 v72, 0xbf167918, v67 :: v_dual_fmac_f32 v1, 0xbf167918, v20
	s_delay_alu instid0(VALU_DEP_1) | instskip(NEXT) | instid1(VALU_DEP_4)
	v_fmac_f32_e32 v1, 0x3e9e377a, v21
	v_fmac_f32_e32 v74, 0x3f167918, v20
	;; [unrolled: 1-line block ×3, first 2 shown]
	s_delay_alu instid0(VALU_DEP_2) | instskip(SKIP_4) | instid1(VALU_DEP_3)
	v_dual_fmac_f32 v74, 0x3e9e377a, v21 :: v_dual_sub_f32 v21, v9, v7
	v_fmac_f32_e32 v0, 0x3f167918, v67
	v_sub_f32_e32 v67, v29, v27
	v_add_f32_e32 v27, v10, v2
	v_fmac_f32_e32 v73, 0xbf167918, v22
	v_add_f32_e32 v26, v67, v26
	s_delay_alu instid0(VALU_DEP_3) | instskip(SKIP_1) | instid1(VALU_DEP_3)
	v_dual_add_f32 v22, v8, v27 :: v_dual_sub_f32 v27, v10, v8
	v_sub_f32_e32 v67, v8, v10
	v_dual_fmac_f32 v31, 0x3e9e377a, v26 :: v_dual_add_f32 v68, v69, v68
	v_fmac_f32_e32 v73, 0x3e9e377a, v26
	s_delay_alu instid0(VALU_DEP_4) | instskip(SKIP_4) | instid1(VALU_DEP_2)
	v_add_f32_e32 v20, v6, v22
	v_fma_f32 v22, -0.5, v23, v2
	s_wait_loadcnt 0x0
	v_dual_add_f32 v23, v4, v10 :: v_dual_sub_f32 v26, v11, v5
	v_fmac_f32_e32 v72, 0x3e9e377a, v68
	v_fmac_f32_e32 v2, -0.5, v23
	s_delay_alu instid0(VALU_DEP_3)
	v_dual_fmamk_f32 v23, v26, 0xbf737871, v22 :: v_dual_add_f32 v28, v29, v28
	v_dual_sub_f32 v29, v4, v6 :: v_dual_fmac_f32 v0, 0x3e9e377a, v68
	v_sub_f32_e32 v68, v6, v4
	v_fmac_f32_e32 v22, 0x3f737871, v26
	v_fmamk_f32 v66, v21, 0x3f737871, v2
	v_fmac_f32_e32 v23, 0xbf167918, v21
	v_add_f32_e32 v27, v29, v27
	v_add_f32_e32 v29, v68, v67
	v_dual_sub_f32 v67, v7, v5 :: v_dual_add_f32 v20, v4, v20
	v_sub_f32_e32 v4, v10, v4
	v_fmac_f32_e32 v2, 0xbf737871, v21
	v_fmac_f32_e32 v22, 0x3f167918, v21
	;; [unrolled: 1-line block ×4, first 2 shown]
	s_delay_alu instid0(VALU_DEP_4) | instskip(SKIP_3) | instid1(VALU_DEP_4)
	v_dual_add_f32 v21, v7, v9 :: v_dual_fmac_f32 v2, 0x3f167918, v26
	v_sub_f32_e32 v6, v8, v6
	v_add_f32_e32 v26, v5, v11
	v_add_f32_e32 v10, v11, v3
	v_fma_f32 v21, -0.5, v21, v3
	v_fmac_f32_e32 v2, 0x3e9e377a, v29
	s_delay_alu instid0(VALU_DEP_4) | instskip(SKIP_1) | instid1(VALU_DEP_1)
	v_dual_sub_f32 v8, v11, v9 :: v_dual_fmac_f32 v3, -0.5, v26
	v_sub_f32_e32 v11, v9, v11
	v_dual_add_f32 v11, v67, v11 :: v_dual_fmac_f32 v66, 0x3e9e377a, v29
	s_delay_alu instid0(VALU_DEP_3) | instskip(SKIP_1) | instid1(VALU_DEP_2)
	v_fmamk_f32 v29, v6, 0xbf737871, v3
	v_fmac_f32_e32 v3, 0x3f737871, v6
	v_fmac_f32_e32 v29, 0x3f167918, v4
	s_delay_alu instid0(VALU_DEP_2) | instskip(NEXT) | instid1(VALU_DEP_2)
	v_fmac_f32_e32 v3, 0xbf167918, v4
	v_fmac_f32_e32 v29, 0x3e9e377a, v11
	s_delay_alu instid0(VALU_DEP_2) | instskip(NEXT) | instid1(VALU_DEP_2)
	v_fmac_f32_e32 v3, 0x3e9e377a, v11
	v_mul_f32_e32 v11, 0xbf737871, v29
	v_fmamk_f32 v26, v4, 0x3f737871, v21
	v_fmac_f32_e32 v21, 0xbf737871, v4
	s_delay_alu instid0(VALU_DEP_4) | instskip(NEXT) | instid1(VALU_DEP_4)
	v_mul_f32_e32 v81, 0xbe9e377a, v3
	v_fmac_f32_e32 v11, 0x3e9e377a, v66
	v_add_f32_e32 v4, v9, v10
	s_delay_alu instid0(VALU_DEP_4) | instskip(SKIP_3) | instid1(VALU_DEP_2)
	v_fmac_f32_e32 v21, 0xbf167918, v6
	v_fmac_f32_e32 v22, 0x3e9e377a, v27
	v_sub_f32_e32 v27, v5, v7
	v_sub_f32_e32 v9, v30, v20
	v_dual_add_f32 v8, v27, v8 :: v_dual_mul_f32 v27, 0xbf737871, v3
	v_dual_fmac_f32 v26, 0x3f167918, v6 :: v_dual_sub_f32 v3, v72, v11
	s_delay_alu instid0(VALU_DEP_2) | instskip(NEXT) | instid1(VALU_DEP_1)
	v_dual_add_f32 v6, v72, v11 :: v_dual_fmac_f32 v21, 0x3e9e377a, v8
	v_mul_f32_e32 v77, 0xbf167918, v21
	s_delay_alu instid0(VALU_DEP_3) | instskip(SKIP_1) | instid1(VALU_DEP_3)
	v_fmac_f32_e32 v26, 0x3e9e377a, v8
	v_dual_add_f32 v4, v7, v4 :: v_dual_mul_f32 v21, 0xbf4f1bbd, v21
	v_fmac_f32_e32 v77, 0xbf4f1bbd, v22
	s_delay_alu instid0(VALU_DEP_2) | instskip(SKIP_2) | instid1(VALU_DEP_3)
	v_dual_mul_f32 v10, 0xbf167918, v26 :: v_dual_add_f32 v75, v5, v4
	v_add_f32_e32 v4, v20, v30
	v_mul_u32_u24_e32 v20, 10, v102
	v_dual_sub_f32 v11, v70, v77 :: v_dual_fmac_f32 v10, 0x3f4f1bbd, v23
	v_mul_f32_e32 v23, 0x3f167918, v23
	v_mul_f32_e32 v78, 0x3f737871, v66
	v_dual_add_f32 v8, v70, v77 :: v_dual_fmac_f32 v21, 0x3f167918, v22
	v_sub_f32_e32 v77, v28, v75
	s_delay_alu instid0(VALU_DEP_4) | instskip(NEXT) | instid1(VALU_DEP_4)
	v_fmac_f32_e32 v23, 0x3f4f1bbd, v26
	v_dual_add_f32 v5, v71, v10 :: v_dual_fmac_f32 v78, 0x3e9e377a, v29
	s_delay_alu instid0(VALU_DEP_4) | instskip(NEXT) | instid1(VALU_DEP_3)
	v_dual_add_f32 v66, v75, v28 :: v_dual_sub_f32 v85, v73, v21
	v_add_f32_e32 v67, v31, v23
	v_fmac_f32_e32 v27, 0xbe9e377a, v2
	v_fmac_f32_e32 v81, 0x3f737871, v2
	v_sub_f32_e32 v2, v71, v10
	v_lshl_add_u32 v71, v20, 2, 0
	v_dual_sub_f32 v79, v31, v23 :: v_dual_add_f32 v68, v74, v78
	s_delay_alu instid0(VALU_DEP_4) | instskip(NEXT) | instid1(VALU_DEP_3)
	v_dual_sub_f32 v80, v74, v78 :: v_dual_add_f32 v69, v1, v81
	v_mad_i32_i24 v82, 0xffffffdc, v102, v71
	v_sub_f32_e32 v10, v0, v27
	v_dual_sub_f32 v84, v1, v81 :: v_dual_add_nc_u32 v81, 0xfa0, v71
	v_add_nc_u32_e32 v92, 0xfb0, v71
	s_delay_alu instid0(VALU_DEP_4)
	v_add_nc_u32_e32 v78, 0x1e00, v82
	v_add_nc_u32_e32 v74, 0xe00, v82
	;; [unrolled: 1-line block ×4, first 2 shown]
	v_dual_add_f32 v7, v0, v27 :: v_dual_add_nc_u32 v86, 0x2000, v82
	v_dual_add_f32 v76, v73, v21 :: v_dual_add_nc_u32 v93, 0x1f40, v71
	v_add_nc_u32_e32 v87, 0x400, v82
	v_add_nc_u32_e32 v94, 0x1f50, v71
	ds_store_2addr_b64 v71, v[40:41], v[42:43] offset1:1
	ds_store_2addr_b64 v71, v[50:51], v[54:55] offset0:2 offset1:3
	ds_store_2addr_b64 v81, v[38:39], v[60:61] offset1:1
	ds_store_2addr_b64 v92, v[62:63], v[34:35] offset1:1
	;; [unrolled: 1-line block ×4, first 2 shown]
	ds_store_b64 v71, v[52:53] offset:32
	ds_store_b64 v71, v[64:65] offset:4032
	;; [unrolled: 1-line block ×3, first 2 shown]
	global_wb scope:SCOPE_SE
	s_wait_dscnt 0x0
	s_wait_kmcnt 0x0
	s_barrier_signal -1
	s_barrier_wait -1
	global_inv scope:SCOPE_SE
	ds_load_2addr_b32 v[8:9], v82 offset1:100
	ds_load_2addr_b32 v[28:29], v74 offset0:104 offset1:204
	ds_load_2addr_b32 v[30:31], v78 offset0:80 offset1:180
	;; [unrolled: 1-line block ×6, first 2 shown]
	v_and_b32_e32 v53, 0xff, v102
	v_add_nc_u16 v50, v102, 0x64
	v_add_nc_u32_e32 v72, 0x1400, v82
	v_add_nc_u32_e32 v73, 0x2800, v82
	v_add_nc_u32_e32 v90, 0x2400, v82
	v_mul_lo_u16 v0, 0xcd, v53
	v_and_b32_e32 v51, 0xff, v50
	v_add_nc_u32_e32 v70, 0xc00, v82
	v_add_nc_u32_e32 v88, 0x800, v82
	;; [unrolled: 1-line block ×3, first 2 shown]
	v_lshrrev_b16 v54, 11, v0
	v_add_nc_u32_e32 v89, 0x1800, v82
	v_add_nc_u32_e32 v91, 0x2a00, v82
	ds_load_2addr_b32 v[42:43], v72 offset0:120 offset1:220
	ds_load_2addr_b32 v[40:41], v90 offset0:96 offset1:196
	;; [unrolled: 1-line block ×8, first 2 shown]
	v_mul_lo_u16 v52, v54, 10
	global_wb scope:SCOPE_SE
	s_wait_dscnt 0x0
	s_barrier_signal -1
	s_barrier_wait -1
	global_inv scope:SCOPE_SE
	ds_store_2addr_b64 v71, v[14:15], v[16:17] offset1:1
	ds_store_2addr_b64 v71, v[18:19], v[24:25] offset0:2 offset1:3
	v_mul_lo_u16 v14, 0xcd, v51
	v_sub_nc_u16 v52, v102, v52
	ds_store_2addr_b64 v81, v[44:45], v[48:49] offset1:1
	ds_store_2addr_b64 v92, v[56:57], v[58:59] offset1:1
	;; [unrolled: 1-line block ×4, first 2 shown]
	v_add_nc_u32_e32 v17, 0x12c, v102
	v_lshrrev_b16 v14, 11, v14
	v_and_b32_e32 v15, 0xff, v52
	v_add_nc_u32_e32 v52, 0xc8, v102
	ds_store_b64 v71, v[12:13] offset:32
	ds_store_b64 v71, v[46:47] offset:4032
	;; [unrolled: 1-line block ×3, first 2 shown]
	v_and_b32_e32 v13, 0xffff, v17
	v_mul_lo_u16 v12, v14, 10
	v_lshlrev_b32_e32 v18, 4, v15
	v_and_b32_e32 v46, 0xffff, v52
	global_wb scope:SCOPE_SE
	s_wait_dscnt 0x0
	v_mul_u32_u24_e32 v24, 0xcccd, v13
	v_sub_nc_u16 v12, v50, v12
	s_barrier_signal -1
	v_mul_u32_u24_e32 v19, 0xcccd, v46
	s_barrier_wait -1
	global_inv scope:SCOPE_SE
	v_and_b32_e32 v16, 0xff, v12
	v_lshrrev_b32_e32 v12, 19, v24
	v_lshrrev_b32_e32 v13, 19, v19
	v_add_nc_u32_e32 v25, 0x190, v102
	global_load_b128 v[55:58], v18, s[8:9]
	v_lshlrev_b32_e32 v19, 4, v16
	v_mul_lo_u16 v44, v12, 10
	v_mul_lo_u16 v24, v13, 10
	v_add_nc_u32_e32 v45, 0x1f4, v102
	v_add_nc_u32_e32 v63, 0x2bc, v102
	global_load_b128 v[59:62], v19, s[8:9]
	v_and_b32_e32 v18, 0xffff, v25
	v_sub_nc_u16 v17, v17, v44
	v_sub_nc_u16 v24, v52, v24
	v_and_b32_e32 v47, 0xffff, v45
	v_lshlrev_b32_e32 v15, 2, v15
	v_mul_u32_u24_e32 v44, 0xcccd, v18
	v_and_b32_e32 v18, 0xffff, v17
	v_and_b32_e32 v19, 0xffff, v24
	v_mul_u32_u24_e32 v24, 0xcccd, v47
	v_add_nc_u32_e32 v47, 0x258, v102
	v_lshrrev_b32_e32 v17, 19, v44
	v_lshlrev_b32_e32 v48, 4, v18
	v_lshlrev_b32_e32 v44, 4, v19
	v_lshrrev_b32_e32 v24, 19, v24
	s_delay_alu instid0(VALU_DEP_4)
	v_mul_lo_u16 v49, v17, 10
	s_clause 0x1
	global_load_b128 v[106:109], v48, s[8:9]
	global_load_b128 v[66:69], v44, s[8:9]
	v_mul_lo_u16 v48, v24, 10
	v_sub_nc_u16 v25, v25, v49
	s_delay_alu instid0(VALU_DEP_1) | instskip(NEXT) | instid1(VALU_DEP_3)
	v_and_b32_e32 v101, 0xffff, v25
	v_sub_nc_u16 v25, v45, v48
	s_delay_alu instid0(VALU_DEP_2) | instskip(NEXT) | instid1(VALU_DEP_2)
	v_lshlrev_b32_e32 v45, 4, v101
	v_and_b32_e32 v135, 0xffff, v25
	global_load_b128 v[110:113], v45, s[8:9]
	v_and_b32_e32 v44, 0xffff, v47
	v_and_b32_e32 v49, 0xffff, v63
	s_delay_alu instid0(VALU_DEP_2) | instskip(NEXT) | instid1(VALU_DEP_1)
	v_mul_u32_u24_e32 v44, 0xcccd, v44
	v_lshrrev_b32_e32 v134, 19, v44
	s_delay_alu instid0(VALU_DEP_3) | instskip(NEXT) | instid1(VALU_DEP_2)
	v_mul_u32_u24_e32 v44, 0xcccd, v49
	v_mul_lo_u16 v49, v134, 10
	s_delay_alu instid0(VALU_DEP_2) | instskip(NEXT) | instid1(VALU_DEP_2)
	v_lshrrev_b32_e32 v25, 19, v44
	v_sub_nc_u16 v47, v47, v49
	s_delay_alu instid0(VALU_DEP_2) | instskip(NEXT) | instid1(VALU_DEP_2)
	v_mul_lo_u16 v49, v25, 10
	v_and_b32_e32 v136, 0xffff, v47
	s_delay_alu instid0(VALU_DEP_2) | instskip(NEXT) | instid1(VALU_DEP_2)
	v_sub_nc_u16 v47, v63, v49
	v_lshlrev_b32_e32 v49, 4, v136
	s_delay_alu instid0(VALU_DEP_2) | instskip(SKIP_2) | instid1(VALU_DEP_1)
	v_and_b32_e32 v104, 0xffff, v47
	global_load_b128 v[118:121], v49, s[8:9]
	v_add_nc_u32_e32 v64, 0x320, v102
	v_and_b32_e32 v48, 0xffff, v64
	s_delay_alu instid0(VALU_DEP_1) | instskip(SKIP_1) | instid1(VALU_DEP_2)
	v_mul_u32_u24_e32 v44, 0xcccd, v48
	v_lshlrev_b32_e32 v48, 4, v135
	v_lshrrev_b32_e32 v98, 19, v44
	global_load_b128 v[114:117], v48, s[8:9]
	v_add_nc_u32_e32 v45, 0x384, v102
	s_delay_alu instid0(VALU_DEP_1) | instskip(NEXT) | instid1(VALU_DEP_1)
	v_and_b32_e32 v44, 0xffff, v45
	v_mul_u32_u24_e32 v44, 0xcccd, v44
	s_delay_alu instid0(VALU_DEP_1) | instskip(SKIP_3) | instid1(VALU_DEP_1)
	v_lshrrev_b32_e32 v99, 19, v44
	v_lshlrev_b32_e32 v44, 4, v104
	global_load_b128 v[122:125], v44, s[8:9]
	v_mul_lo_u16 v48, v98, 10
	v_sub_nc_u16 v47, v64, v48
	v_mul_lo_u16 v48, v99, 10
	s_delay_alu instid0(VALU_DEP_2) | instskip(NEXT) | instid1(VALU_DEP_2)
	v_and_b32_e32 v105, 0xffff, v47
	v_sub_nc_u16 v44, v45, v48
	s_delay_alu instid0(VALU_DEP_2) | instskip(SKIP_2) | instid1(VALU_DEP_1)
	v_lshlrev_b32_e32 v45, 4, v105
	global_load_b128 v[126:129], v45, s[8:9]
	v_and_b32_e32 v100, 0xffff, v44
	v_lshlrev_b32_e32 v44, 4, v100
	global_load_b128 v[130:133], v44, s[8:9]
	ds_load_2addr_b32 v[44:45], v74 offset0:104 offset1:204
	ds_load_2addr_b32 v[47:48], v78 offset0:80 offset1:180
	;; [unrolled: 1-line block ×3, first 2 shown]
	s_wait_loadcnt_dscnt 0x902
	v_mul_f32_e32 v137, v44, v56
	s_wait_dscnt 0x1
	v_dual_mul_f32 v49, v28, v56 :: v_dual_mul_f32 v138, v47, v58
	s_delay_alu instid0(VALU_DEP_2)
	v_dual_mul_f32 v56, v30, v58 :: v_dual_fmac_f32 v137, v28, v55
	s_wait_loadcnt 0x8
	v_mul_f32_e32 v28, v29, v60
	v_mul_f32_e32 v64, v45, v60
	v_fma_f32 v139, v44, v55, -v49
	v_mul_f32_e32 v79, v48, v62
	v_mul_f32_e32 v44, v31, v62
	v_fma_f32 v94, v45, v59, -v28
	v_fmac_f32_e32 v138, v30, v57
	s_delay_alu instid0(VALU_DEP_4) | instskip(NEXT) | instid1(VALU_DEP_4)
	v_dual_fmac_f32 v64, v29, v59 :: v_dual_fmac_f32 v79, v31, v61
	v_fma_f32 v95, v48, v61, -v44
	v_fma_f32 v140, v47, v57, -v56
	s_wait_loadcnt_dscnt 0x700
	v_mul_f32_e32 v61, v77, v107
	s_wait_loadcnt 0x6
	v_mul_f32_e32 v45, v26, v67
	ds_load_2addr_b32 v[84:85], v86 offset0:152 offset1:252
	ds_load_2addr_b32 v[30:31], v90 offset0:96 offset1:196
	v_mul_f32_e32 v56, v76, v67
	v_mul_f32_e32 v44, v22, v69
	v_fma_f32 v80, v76, v66, -v45
	v_fmac_f32_e32 v61, v27, v106
	s_delay_alu instid0(VALU_DEP_4)
	v_fmac_f32_e32 v56, v26, v66
	v_mul_f32_e32 v26, v27, v107
	s_wait_loadcnt 0x5
	v_mul_f32_e32 v45, v42, v111
	s_wait_dscnt 0x1
	v_mul_f32_e32 v65, v84, v69
	ds_load_2addr_b32 v[28:29], v72 offset0:120 offset1:220
	v_fma_f32 v66, v84, v68, -v44
	v_mul_f32_e32 v44, v23, v109
	v_mul_f32_e32 v63, v85, v109
	v_fmac_f32_e32 v65, v22, v68
	v_fma_f32 v84, v77, v106, -v26
	ds_load_2addr_b32 v[26:27], v89 offset0:64 offset1:164
	v_fma_f32 v92, v85, v108, -v44
	v_dual_mul_f32 v44, v40, v113 :: v_dual_fmac_f32 v63, v23, v108
	ds_load_2addr_b32 v[22:23], v73 offset0:40 offset1:140
	s_wait_dscnt 0x3
	v_dual_mul_f32 v57, v30, v113 :: v_dual_and_b32 v14, 0xffff, v14
	v_fma_f32 v58, v30, v112, -v44
	s_delay_alu instid0(VALU_DEP_2)
	v_fmac_f32_e32 v57, v40, v112
	s_wait_dscnt 0x2
	v_mul_f32_e32 v48, v28, v111
	v_fma_f32 v69, v28, v110, -v45
	ds_load_2addr_b32 v[44:45], v103 offset0:8 offset1:108
	v_fmac_f32_e32 v48, v42, v110
	s_wait_loadcnt_dscnt 0x401
	v_mul_f32_e32 v67, v22, v121
	v_mul_f32_e32 v40, v34, v119
	;; [unrolled: 1-line block ×3, first 2 shown]
	s_delay_alu instid0(VALU_DEP_3) | instskip(NEXT) | instid1(VALU_DEP_3)
	v_fmac_f32_e32 v67, v38, v120
	v_fma_f32 v93, v26, v118, -v40
	s_wait_loadcnt 0x3
	s_delay_alu instid0(VALU_DEP_3) | instskip(SKIP_3) | instid1(VALU_DEP_4)
	v_dual_fmac_f32 v47, v34, v118 :: v_dual_mul_f32 v28, v43, v115
	v_mul_f32_e32 v49, v29, v115
	v_mul_f32_e32 v30, v41, v117
	;; [unrolled: 1-line block ×3, first 2 shown]
	v_fma_f32 v76, v29, v114, -v28
	ds_load_2addr_b32 v[28:29], v91 offset0:112 offset1:212
	v_fma_f32 v96, v31, v116, -v30
	v_dual_mul_f32 v30, v38, v121 :: v_dual_fmac_f32 v49, v43, v114
	v_fmac_f32_e32 v62, v41, v116
	v_sub_f32_e32 v116, v137, v138
	s_delay_alu instid0(VALU_DEP_3) | instskip(SKIP_4) | instid1(VALU_DEP_3)
	v_fma_f32 v71, v22, v120, -v30
	s_wait_loadcnt 0x2
	v_mul_f32_e32 v22, v35, v123
	v_mul_f32_e32 v68, v23, v125
	;; [unrolled: 1-line block ×3, first 2 shown]
	v_fma_f32 v85, v27, v122, -v22
	s_delay_alu instid0(VALU_DEP_3) | instskip(NEXT) | instid1(VALU_DEP_3)
	v_fmac_f32_e32 v68, v39, v124
	v_fmac_f32_e32 v59, v35, v122
	s_wait_loadcnt_dscnt 0x101
	v_mul_f32_e32 v31, v44, v127
	v_mul_f32_e32 v22, v20, v127
	s_wait_dscnt 0x0
	v_mul_f32_e32 v55, v28, v129
	s_delay_alu instid0(VALU_DEP_3) | instskip(SKIP_1) | instid1(VALU_DEP_3)
	v_dual_mul_f32 v26, v39, v125 :: v_dual_fmac_f32 v31, v20, v126
	v_mul_f32_e32 v20, v10, v129
	v_dual_fmac_f32 v55, v10, v128 :: v_dual_and_b32 v10, 0xffff, v54
	s_delay_alu instid0(VALU_DEP_3)
	v_fma_f32 v81, v23, v124, -v26
	s_wait_loadcnt 0x0
	v_mul_f32_e32 v108, v29, v133
	v_fma_f32 v97, v28, v128, -v20
	v_mul_f32_e32 v20, v11, v133
	v_mul_u32_u24_e32 v10, 0x78, v10
	s_delay_alu instid0(VALU_DEP_4)
	v_fmac_f32_e32 v108, v11, v132
	v_sub_f32_e32 v11, v139, v140
	v_fma_f32 v77, v44, v126, -v22
	v_mul_f32_e32 v22, v21, v131
	v_fma_f32 v109, v29, v132, -v20
	v_add_f32_e32 v20, v64, v79
	v_mul_f32_e32 v60, v45, v131
	v_add3_u32 v110, 0, v10, v15
	v_fma_f32 v54, v45, v130, -v22
	v_add_f32_e32 v22, v137, v138
	ds_load_2addr_b32 v[106:107], v82 offset1:100
	ds_load_2addr_b32 v[44:45], v75 offset0:72 offset1:172
	ds_load_2addr_b32 v[42:43], v87 offset0:144 offset1:244
	;; [unrolled: 1-line block ×4, first 2 shown]
	v_dual_fmac_f32 v60, v21, v130 :: v_dual_add_f32 v21, v8, v137
	global_wb scope:SCOPE_SE
	s_wait_dscnt 0x0
	v_fma_f32 v8, -0.5, v22, v8
	s_barrier_signal -1
	s_barrier_wait -1
	v_add_f32_e32 v10, v21, v138
	global_inv scope:SCOPE_SE
	v_fmamk_f32 v15, v11, 0xbf5db3d7, v8
	v_dual_fmac_f32 v8, 0x3f5db3d7, v11 :: v_dual_add_f32 v11, v9, v64
	ds_store_2addr_b32 v110, v10, v15 offset1:10
	ds_store_b32 v110, v8 offset:80
	v_dual_add_f32 v15, v56, v65 :: v_dual_add_f32 v8, v11, v79
	v_mul_u32_u24_e32 v11, 0x78, v13
	v_lshlrev_b32_e32 v13, 2, v19
	v_fmac_f32_e32 v9, -0.5, v20
	s_delay_alu instid0(VALU_DEP_2) | instskip(SKIP_2) | instid1(VALU_DEP_1)
	v_add3_u32 v112, 0, v11, v13
	v_mul_u32_u24_e32 v11, 0x78, v12
	v_dual_add_f32 v13, v7, v61 :: v_dual_lshlrev_b32 v12, 2, v18
	v_add3_u32 v113, 0, v11, v12
	v_sub_f32_e32 v11, v84, v92
	v_mul_u32_u24_e32 v14, 0x78, v14
	v_lshlrev_b32_e32 v16, 2, v16
	v_mul_u32_u24_e32 v12, 0x78, v17
	s_delay_alu instid0(VALU_DEP_2) | instskip(SKIP_4) | instid1(VALU_DEP_2)
	v_add3_u32 v111, 0, v14, v16
	v_add_f32_e32 v14, v6, v56
	v_fma_f32 v6, -0.5, v15, v6
	v_dual_add_f32 v15, v4, v48 :: v_dual_sub_f32 v20, v94, v95
	v_sub_f32_e32 v56, v56, v65
	v_fmamk_f32 v10, v20, 0xbf5db3d7, v9
	v_fmac_f32_e32 v9, 0x3f5db3d7, v20
	ds_store_2addr_b32 v111, v8, v10 offset1:10
	ds_store_b32 v111, v9 offset:80
	v_dual_add_f32 v10, v61, v63 :: v_dual_sub_f32 v9, v80, v66
	v_dual_add_f32 v8, v14, v65 :: v_dual_add_f32 v65, v45, v84
	s_delay_alu instid0(VALU_DEP_2) | instskip(NEXT) | instid1(VALU_DEP_3)
	v_dual_fmac_f32 v7, -0.5, v10 :: v_dual_add_f32 v10, v48, v57
	v_fmamk_f32 v14, v9, 0xbf5db3d7, v6
	v_dual_fmac_f32 v6, 0x3f5db3d7, v9 :: v_dual_add_f32 v9, v13, v63
	v_lshlrev_b32_e32 v13, 2, v101
	s_delay_alu instid0(VALU_DEP_4) | instskip(SKIP_4) | instid1(VALU_DEP_4)
	v_fma_f32 v4, -0.5, v10, v4
	v_sub_f32_e32 v10, v69, v58
	v_fmamk_f32 v16, v11, 0xbf5db3d7, v7
	v_fmac_f32_e32 v7, 0x3f5db3d7, v11
	v_add3_u32 v101, 0, v12, v13
	v_dual_add_f32 v11, v15, v57 :: v_dual_fmamk_f32 v12, v10, 0xbf5db3d7, v4
	ds_store_2addr_b32 v112, v8, v14 offset1:10
	ds_store_b32 v112, v6 offset:80
	ds_store_2addr_b32 v113, v9, v16 offset1:10
	ds_store_b32 v113, v7 offset:80
	ds_store_2addr_b32 v101, v11, v12 offset1:10
	v_add_f32_e32 v6, v49, v62
	v_mul_u32_u24_e32 v7, 0x78, v24
	v_dual_add_f32 v9, v5, v49 :: v_dual_lshlrev_b32 v8, 2, v135
	v_sub_f32_e32 v11, v93, v71
	s_delay_alu instid0(VALU_DEP_4) | instskip(NEXT) | instid1(VALU_DEP_3)
	v_dual_fmac_f32 v5, -0.5, v6 :: v_dual_add_f32 v6, v47, v67
	v_add3_u32 v114, 0, v7, v8
	s_delay_alu instid0(VALU_DEP_4) | instskip(SKIP_1) | instid1(VALU_DEP_4)
	v_dual_add_f32 v7, v9, v62 :: v_dual_sub_f32 v8, v76, v96
	v_add_f32_e32 v9, v2, v47
	v_fma_f32 v2, -0.5, v6, v2
	v_fmac_f32_e32 v4, 0x3f5db3d7, v10
	v_mul_u32_u24_e32 v6, 0x78, v134
	v_fmamk_f32 v12, v8, 0xbf5db3d7, v5
	v_dual_fmac_f32 v5, 0x3f5db3d7, v8 :: v_dual_add_f32 v8, v9, v67
	v_fmamk_f32 v9, v11, 0xbf5db3d7, v2
	v_dual_fmac_f32 v2, 0x3f5db3d7, v11 :: v_dual_add_f32 v11, v60, v108
	v_lshlrev_b32_e32 v10, 2, v136
	ds_store_b32 v101, v4 offset:80
	v_dual_add_f32 v4, v106, v139 :: v_dual_lshlrev_b32 v13, 2, v104
	v_lshlrev_b32_e32 v15, 2, v105
	v_add3_u32 v6, 0, v6, v10
	ds_store_2addr_b32 v114, v7, v12 offset1:10
	ds_store_b32 v114, v5 offset:80
	ds_store_2addr_b32 v6, v8, v9 offset1:10
	v_add_f32_e32 v5, v59, v68
	v_add_f32_e32 v7, v31, v55
	v_dual_add_f32 v8, v3, v59 :: v_dual_sub_f32 v9, v77, v97
	v_add_f32_e32 v115, v4, v140
	s_delay_alu instid0(VALU_DEP_4)
	v_fmac_f32_e32 v3, -0.5, v5
	v_sub_f32_e32 v5, v85, v81
	v_fma_f32 v7, -0.5, v7, v0
	v_add_f32_e32 v4, v139, v140
	v_mul_u32_u24_e32 v12, 0x78, v25
	v_mul_u32_u24_e32 v14, 0x78, v98
	v_fmamk_f32 v10, v5, 0xbf5db3d7, v3
	v_fmac_f32_e32 v3, 0x3f5db3d7, v5
	v_fmamk_f32 v5, v9, 0xbf5db3d7, v7
	v_fmac_f32_e32 v7, 0x3f5db3d7, v9
	v_add_f32_e32 v9, v1, v60
	v_fmac_f32_e32 v1, -0.5, v11
	v_dual_sub_f32 v11, v54, v109 :: v_dual_add_f32 v0, v0, v31
	ds_store_b32 v6, v2 offset:80
	v_add3_u32 v2, 0, v12, v13
	v_lshlrev_b32_e32 v12, 2, v100
	v_fmamk_f32 v16, v11, 0xbf5db3d7, v1
	v_fmac_f32_e32 v1, 0x3f5db3d7, v11
	v_mul_u32_u24_e32 v11, 0x78, v99
	v_fma_f32 v99, -0.5, v4, v106
	v_add3_u32 v98, 0, v14, v15
	v_add_f32_e32 v0, v0, v55
	v_add_f32_e32 v4, v9, v108
	v_add3_u32 v100, 0, v11, v12
	v_fmamk_f32 v104, v116, 0x3f5db3d7, v99
	v_fmac_f32_e32 v99, 0xbf5db3d7, v116
	v_add_f32_e32 v8, v8, v68
	ds_store_2addr_b32 v2, v8, v10 offset1:10
	ds_store_b32 v2, v3 offset:80
	ds_store_2addr_b32 v98, v0, v5 offset1:10
	ds_store_b32 v98, v7 offset:80
	;; [unrolled: 2-line block ×3, first 2 shown]
	v_dual_add_f32 v3, v94, v95 :: v_dual_add_f32 v94, v107, v94
	v_sub_f32_e32 v47, v47, v67
	v_sub_f32_e32 v31, v31, v55
	global_wb scope:SCOPE_SE
	s_wait_dscnt 0x0
	v_fmac_f32_e32 v107, -0.5, v3
	v_sub_f32_e32 v3, v64, v79
	s_barrier_signal -1
	s_barrier_wait -1
	global_inv scope:SCOPE_SE
	ds_load_2addr_b32 v[4:5], v82 offset1:100
	ds_load_2addr_b32 v[0:1], v75 offset0:72 offset1:172
	ds_load_2addr_b32 v[34:35], v88 offset0:88 offset1:188
	ds_load_2addr_b32 v[27:28], v70 offset0:32 offset1:132
	ds_load_2addr_b32 v[25:26], v83 offset0:48 offset1:148
	ds_load_2addr_b32 v[17:18], v72 offset0:120 offset1:220
	ds_load_2addr_b32 v[23:24], v103 offset0:8 offset1:108
	ds_load_2addr_b32 v[11:12], v78 offset0:80 offset1:180
	ds_load_2addr_b32 v[19:20], v90 offset0:96 offset1:196
	ds_load_2addr_b32 v[9:10], v73 offset0:40 offset1:140
	ds_load_2addr_b32 v[29:30], v87 offset0:144 offset1:244
	ds_load_2addr_b32 v[21:22], v74 offset0:104 offset1:204
	ds_load_2addr_b32 v[15:16], v89 offset0:64 offset1:164
	ds_load_2addr_b32 v[13:14], v86 offset0:152 offset1:252
	ds_load_2addr_b32 v[7:8], v91 offset0:112 offset1:212
	v_fmamk_f32 v79, v3, 0x3f5db3d7, v107
	v_fmac_f32_e32 v107, 0xbf5db3d7, v3
	v_dual_add_f32 v3, v84, v92 :: v_dual_add_f32 v64, v94, v95
	global_wb scope:SCOPE_SE
	s_wait_dscnt 0x0
	s_barrier_signal -1
	s_barrier_wait -1
	v_fmac_f32_e32 v45, -0.5, v3
	v_dual_sub_f32 v3, v61, v63 :: v_dual_add_f32 v94, v80, v66
	v_add_f32_e32 v80, v44, v80
	global_inv scope:SCOPE_SE
	ds_store_2addr_b32 v110, v115, v104 offset1:10
	ds_store_b32 v110, v99 offset:80
	v_fma_f32 v44, -0.5, v94, v44
	v_add_f32_e32 v61, v80, v66
	v_dual_add_f32 v66, v69, v58 :: v_dual_add_f32 v69, v42, v69
	v_sub_f32_e32 v48, v48, v57
	s_delay_alu instid0(VALU_DEP_4)
	v_fmamk_f32 v63, v56, 0x3f5db3d7, v44
	v_fmac_f32_e32 v44, 0xbf5db3d7, v56
	v_dual_add_f32 v56, v65, v92 :: v_dual_fmamk_f32 v65, v3, 0x3f5db3d7, v45
	v_fmac_f32_e32 v45, 0xbf5db3d7, v3
	v_add_f32_e32 v3, v76, v96
	v_fma_f32 v57, -0.5, v66, v42
	v_add_f32_e32 v42, v43, v76
	ds_store_2addr_b32 v111, v64, v79 offset1:10
	ds_store_b32 v111, v107 offset:80
	v_fmac_f32_e32 v43, -0.5, v3
	v_sub_f32_e32 v3, v49, v62
	v_dual_add_f32 v49, v69, v58 :: v_dual_fmamk_f32 v58, v48, 0x3f5db3d7, v57
	v_fmac_f32_e32 v57, 0xbf5db3d7, v48
	ds_store_2addr_b32 v112, v61, v63 offset1:10
	ds_store_b32 v112, v44 offset:80
	ds_store_2addr_b32 v113, v56, v65 offset1:10
	ds_store_b32 v113, v45 offset:80
	v_fmamk_f32 v62, v3, 0x3f5db3d7, v43
	v_dual_fmac_f32 v43, 0xbf5db3d7, v3 :: v_dual_add_f32 v48, v42, v96
	v_add_f32_e32 v42, v93, v71
	v_add_f32_e32 v3, v85, v81
	v_add_f32_e32 v66, v40, v93
	s_delay_alu instid0(VALU_DEP_3) | instskip(NEXT) | instid1(VALU_DEP_3)
	v_fma_f32 v40, -0.5, v42, v40
	v_dual_add_f32 v42, v41, v85 :: v_dual_fmac_f32 v41, -0.5, v3
	s_delay_alu instid0(VALU_DEP_3) | instskip(NEXT) | instid1(VALU_DEP_3)
	v_dual_add_f32 v66, v66, v71 :: v_dual_sub_f32 v3, v59, v68
	v_fmamk_f32 v59, v47, 0x3f5db3d7, v40
	s_delay_alu instid0(VALU_DEP_3) | instskip(NEXT) | instid1(VALU_DEP_3)
	v_dual_fmac_f32 v40, 0xbf5db3d7, v47 :: v_dual_add_f32 v47, v42, v81
	v_dual_add_f32 v42, v38, v77 :: v_dual_fmamk_f32 v67, v3, 0x3f5db3d7, v41
	v_dual_add_f32 v68, v77, v97 :: v_dual_fmac_f32 v41, 0xbf5db3d7, v3
	v_add_f32_e32 v3, v54, v109
	s_delay_alu instid0(VALU_DEP_3) | instskip(NEXT) | instid1(VALU_DEP_3)
	v_dual_add_f32 v69, v42, v97 :: v_dual_add_f32 v42, v39, v54
	v_fma_f32 v38, -0.5, v68, v38
	ds_store_2addr_b32 v101, v49, v58 offset1:10
	ds_store_b32 v101, v57 offset:80
	ds_store_2addr_b32 v114, v48, v62 offset1:10
	ds_store_b32 v114, v43 offset:80
	v_fmac_f32_e32 v39, -0.5, v3
	v_mul_lo_u16 v3, 0x89, v53
	v_add_f32_e32 v55, v42, v109
	v_dual_sub_f32 v53, v60, v108 :: v_dual_fmamk_f32 v54, v31, 0x3f5db3d7, v38
	v_fmac_f32_e32 v38, 0xbf5db3d7, v31
	s_delay_alu instid0(VALU_DEP_4)
	v_lshrrev_b16 v42, 12, v3
	ds_store_2addr_b32 v6, v66, v59 offset1:10
	ds_store_b32 v6, v40 offset:80
	ds_store_2addr_b32 v2, v47, v67 offset1:10
	ds_store_b32 v2, v41 offset:80
	v_fmamk_f32 v3, v53, 0x3f5db3d7, v39
	v_fmac_f32_e32 v39, 0xbf5db3d7, v53
	ds_store_2addr_b32 v98, v69, v54 offset1:10
	ds_store_b32 v98, v38 offset:80
	ds_store_2addr_b32 v100, v55, v3 offset1:10
	ds_store_b32 v100, v39 offset:80
	v_mul_lo_u16 v31, v42, 30
	v_mul_lo_u16 v3, 0x89, v51
	global_wb scope:SCOPE_SE
	s_wait_dscnt 0x0
	s_barrier_signal -1
	s_barrier_wait -1
	v_sub_nc_u16 v31, v102, v31
	v_lshrrev_b16 v38, 12, v3
	global_inv scope:SCOPE_SE
	v_mul_u32_u24_e32 v6, 0x8889, v46
	v_and_b32_e32 v42, 0xffff, v42
	v_and_b32_e32 v31, 0xff, v31
	v_mul_lo_u16 v3, v38, 30
	v_and_b32_e32 v38, 0xffff, v38
	v_lshrrev_b32_e32 v39, 20, v6
	v_mul_u32_u24_e32 v42, 0x4b0, v42
	v_mul_u32_u24_e32 v2, 9, v31
	v_sub_nc_u16 v3, v50, v3
	v_mul_u32_u24_e32 v38, 0x4b0, v38
	s_delay_alu instid0(VALU_DEP_3) | instskip(NEXT) | instid1(VALU_DEP_3)
	v_lshlrev_b32_e32 v2, 3, v2
	v_and_b32_e32 v40, 0xff, v3
	v_mul_lo_u16 v3, v39, 30
	s_clause 0x3
	global_load_b128 v[53:56], v2, s[8:9] offset:160
	global_load_b128 v[43:46], v2, s[8:9] offset:176
	;; [unrolled: 1-line block ×4, first 2 shown]
	v_mul_u32_u24_e32 v6, 9, v40
	v_sub_nc_u16 v3, v52, v3
	v_lshlrev_b32_e32 v40, 2, v40
	s_delay_alu instid0(VALU_DEP_3) | instskip(NEXT) | instid1(VALU_DEP_3)
	v_lshlrev_b32_e32 v6, 3, v6
	v_and_b32_e32 v41, 0xffff, v3
	global_load_b128 v[61:64], v6, s[8:9] offset:160
	v_mul_u32_u24_e32 v3, 9, v41
	s_delay_alu instid0(VALU_DEP_1)
	v_lshlrev_b32_e32 v3, 3, v3
	s_clause 0x9
	global_load_b128 v[65:68], v3, s[8:9] offset:160
	global_load_b128 v[92:95], v6, s[8:9] offset:176
	;; [unrolled: 1-line block ×7, first 2 shown]
	global_load_b64 v[76:77], v2, s[8:9] offset:224
	global_load_b64 v[79:80], v6, s[8:9] offset:224
	;; [unrolled: 1-line block ×3, first 2 shown]
	ds_load_2addr_b32 v[2:3], v75 offset0:72 offset1:172
	ds_load_2addr_b32 v[100:101], v88 offset0:88 offset1:188
	;; [unrolled: 1-line block ×8, first 2 shown]
	s_wait_loadcnt_dscnt 0xe06
	v_dual_mul_f32 v71, v100, v56 :: v_dual_mul_f32 v6, v1, v54
	s_wait_loadcnt_dscnt 0xc02
	v_mul_f32_e32 v132, v126, v50
	v_mul_f32_e32 v51, v34, v56
	s_wait_loadcnt_dscnt 0xb00
	v_mul_f32_e32 v133, v130, v60
	v_fmac_f32_e32 v71, v34, v55
	v_mul_f32_e32 v34, v122, v46
	v_mul_f32_e32 v69, v3, v54
	v_fmac_f32_e32 v132, v23, v49
	v_fma_f32 v81, v100, v55, -v51
	v_mul_f32_e32 v46, v25, v46
	v_fmac_f32_e32 v34, v25, v45
	v_fmac_f32_e32 v69, v1, v53
	v_fma_f32 v1, v3, v53, -v6
	v_mul_f32_e32 v3, v121, v44
	v_mul_f32_e32 v6, v28, v44
	v_fma_f32 v122, v122, v45, -v46
	v_lshlrev_b32_e32 v31, 2, v31
	s_delay_alu instid0(VALU_DEP_4) | instskip(NEXT) | instid1(VALU_DEP_4)
	v_fmac_f32_e32 v3, v28, v43
	v_fma_f32 v100, v121, v43, -v6
	ds_load_2addr_b32 v[43:44], v87 offset0:144 offset1:244
	v_mul_f32_e32 v6, v18, v48
	s_wait_loadcnt 0x6
	v_dual_mul_f32 v121, v125, v48 :: v_dual_mul_f32 v48, v22, v105
	v_add3_u32 v31, 0, v42, v31
	s_delay_alu instid0(VALU_DEP_3)
	v_fma_f32 v125, v125, v47, -v6
	v_mul_f32_e32 v6, v12, v58
	s_wait_dscnt 0x0
	v_mul_f32_e32 v28, v44, v66
	v_mul_f32_e32 v134, v43, v62
	;; [unrolled: 1-line block ×4, first 2 shown]
	v_dual_fmac_f32 v121, v18, v47 :: v_dual_mul_f32 v18, v19, v60
	ds_load_2addr_b32 v[46:47], v74 offset0:104 offset1:204
	v_fmac_f32_e32 v134, v29, v61
	v_fmac_f32_e32 v23, v12, v57
	v_fma_f32 v12, v129, v57, -v6
	v_dual_mul_f32 v129, v101, v64 :: v_dual_fmac_f32 v28, v30, v65
	v_mul_f32_e32 v6, v35, v64
	v_fma_f32 v126, v126, v49, -v25
	v_fma_f32 v64, v130, v59, -v18
	s_delay_alu instid0(VALU_DEP_4)
	v_fmac_f32_e32 v129, v35, v63
	v_dual_mul_f32 v25, v30, v66 :: v_dual_mul_f32 v30, v127, v99
	v_fma_f32 v35, v101, v63, -v6
	v_dual_mul_f32 v6, v29, v62 :: v_dual_fmac_f32 v133, v19, v59
	ds_load_2addr_b32 v[18:19], v89 offset0:64 offset1:164
	v_fmac_f32_e32 v30, v24, v98
	v_mul_f32_e32 v57, v120, v68
	v_fma_f32 v43, v43, v61, -v6
	v_mul_f32_e32 v6, v27, v68
	v_fma_f32 v45, v44, v65, -v25
	s_wait_dscnt 0x1
	v_mul_f32_e32 v29, v46, v93
	v_fmac_f32_e32 v57, v27, v67
	v_mul_f32_e32 v27, v123, v95
	v_fma_f32 v56, v120, v67, -v6
	v_mul_f32_e32 v6, v26, v95
	v_mul_f32_e32 v59, v124, v107
	s_wait_loadcnt 0x4
	v_mul_f32_e32 v61, v128, v115
	s_delay_alu instid0(VALU_DEP_3)
	v_fma_f32 v44, v123, v94, -v6
	v_dual_mul_f32 v6, v24, v99 :: v_dual_fmac_f32 v29, v21, v92
	v_fmac_f32_e32 v59, v17, v106
	s_wait_dscnt 0x0
	v_dual_fmac_f32 v61, v11, v114 :: v_dual_mul_f32 v24, v18, v97
	v_mul_f32_e32 v25, v21, v93
	v_mul_f32_e32 v21, v15, v97
	;; [unrolled: 1-line block ×4, first 2 shown]
	v_fmac_f32_e32 v24, v15, v96
	v_fma_f32 v46, v46, v92, -v25
	v_fma_f32 v92, v127, v98, -v6
	v_fmac_f32_e32 v50, v16, v112
	v_mul_f32_e32 v6, v17, v107
	v_fma_f32 v93, v18, v96, -v21
	ds_load_2addr_b32 v[17:18], v91 offset0:112 offset1:212
	v_mul_f32_e32 v15, v20, v111
	v_fma_f32 v58, v124, v106, -v6
	v_dual_mul_f32 v6, v13, v109 :: v_dual_fmac_f32 v27, v26, v94
	ds_load_2addr_b32 v[25:26], v86 offset0:152 offset1:252
	s_wait_dscnt 0x0
	v_mul_f32_e32 v94, v25, v109
	v_mul_f32_e32 v51, v47, v105
	v_fma_f32 v25, v25, v108, -v6
	s_wait_loadcnt 0x3
	v_dual_mul_f32 v6, v11, v115 :: v_dual_mul_f32 v53, v26, v117
	v_fmac_f32_e32 v94, v13, v108
	v_fmac_f32_e32 v51, v22, v104
	ds_load_2addr_b32 v[21:22], v73 offset0:40 offset1:140
	v_fma_f32 v60, v128, v114, -v6
	v_dual_mul_f32 v6, v9, v119 :: v_dual_mul_f32 v13, v16, v113
	v_mul_f32_e32 v11, v14, v117
	v_fmac_f32_e32 v53, v14, v116
	s_wait_loadcnt 0x0
	v_dual_sub_f32 v14, v81, v64 :: v_dual_mul_f32 v55, v18, v85
	v_fma_f32 v49, v19, v112, -v13
	v_fma_f32 v47, v47, v104, -v48
	;; [unrolled: 1-line block ×3, first 2 shown]
	v_add_f32_e32 v19, v71, v133
	v_fmac_f32_e32 v55, v8, v84
	v_mul_f32_e32 v8, v8, v85
	v_dual_mul_f32 v26, v17, v80 :: v_dual_fmac_f32 v65, v20, v110
	s_delay_alu instid0(VALU_DEP_4) | instskip(NEXT) | instid1(VALU_DEP_3)
	v_fma_f32 v20, -0.5, v19, v4
	v_fma_f32 v54, v18, v84, -v8
	s_delay_alu instid0(VALU_DEP_3)
	v_fmac_f32_e32 v26, v7, v79
	s_wait_dscnt 0x0
	v_fma_f32 v62, v21, v118, -v6
	v_add_f32_e32 v6, v34, v132
	v_sub_f32_e32 v8, v132, v133
	v_mul_f32_e32 v11, v22, v77
	v_fma_f32 v95, v131, v110, -v15
	v_sub_f32_e32 v15, v133, v132
	v_fma_f32 v13, -0.5, v6, v4
	v_mul_f32_e32 v63, v21, v119
	v_fmac_f32_e32 v11, v10, v76
	v_sub_f32_e32 v21, v34, v132
	s_delay_alu instid0(VALU_DEP_4)
	v_fmamk_f32 v16, v14, 0xbf737871, v13
	v_fmac_f32_e32 v13, 0x3f737871, v14
	v_fmac_f32_e32 v63, v9, v118
	v_dual_mul_f32 v9, v10, v77 :: v_dual_mul_f32 v10, v7, v80
	ds_load_2addr_b32 v[6:7], v82 offset1:100
	global_wb scope:SCOPE_SE
	s_wait_dscnt 0x0
	s_barrier_signal -1
	v_fma_f32 v9, v22, v76, -v9
	v_fma_f32 v76, v17, v79, -v10
	v_sub_f32_e32 v10, v71, v34
	s_barrier_wait -1
	global_inv scope:SCOPE_SE
	v_add_f32_e32 v10, v10, v15
	v_add_f32_e32 v15, v4, v71
	v_sub_f32_e32 v4, v34, v71
	s_delay_alu instid0(VALU_DEP_1) | instskip(NEXT) | instid1(VALU_DEP_1)
	v_dual_add_f32 v4, v4, v8 :: v_dual_add_f32 v15, v15, v34
	v_dual_add_f32 v8, v15, v132 :: v_dual_sub_f32 v17, v122, v126
	s_delay_alu instid0(VALU_DEP_1) | instskip(NEXT) | instid1(VALU_DEP_2)
	v_add_f32_e32 v8, v8, v133
	v_fmamk_f32 v18, v17, 0x3f737871, v20
	v_fmac_f32_e32 v20, 0xbf737871, v17
	v_fmac_f32_e32 v16, 0xbf167918, v17
	s_delay_alu instid0(VALU_DEP_3) | instskip(NEXT) | instid1(VALU_DEP_3)
	v_fmac_f32_e32 v18, 0xbf167918, v14
	v_fmac_f32_e32 v20, 0x3f167918, v14
	v_add_f32_e32 v14, v6, v81
	v_fmac_f32_e32 v13, 0x3f167918, v17
	s_delay_alu instid0(VALU_DEP_4) | instskip(NEXT) | instid1(VALU_DEP_4)
	v_dual_sub_f32 v17, v64, v126 :: v_dual_fmac_f32 v18, 0x3e9e377a, v4
	v_fmac_f32_e32 v20, 0x3e9e377a, v4
	s_delay_alu instid0(VALU_DEP_4) | instskip(SKIP_3) | instid1(VALU_DEP_4)
	v_dual_add_f32 v4, v14, v122 :: v_dual_add_f32 v19, v81, v64
	v_sub_f32_e32 v14, v81, v122
	v_fmac_f32_e32 v16, 0x3e9e377a, v10
	v_dual_fmac_f32 v13, 0x3e9e377a, v10 :: v_dual_sub_f32 v10, v71, v133
	v_add_f32_e32 v4, v4, v126
	v_fma_f32 v66, -0.5, v19, v6
	v_add_f32_e32 v15, v122, v126
	v_sub_f32_e32 v19, v125, v12
	s_delay_alu instid0(VALU_DEP_4) | instskip(NEXT) | instid1(VALU_DEP_4)
	v_dual_add_f32 v67, v4, v64 :: v_dual_sub_f32 v4, v122, v81
	v_dual_add_f32 v14, v14, v17 :: v_dual_fmamk_f32 v71, v21, 0xbf737871, v66
	v_fmac_f32_e32 v66, 0x3f737871, v21
	v_fma_f32 v34, -0.5, v15, v6
	v_dual_sub_f32 v6, v126, v64 :: v_dual_add_f32 v15, v3, v11
	s_delay_alu instid0(VALU_DEP_4) | instskip(NEXT) | instid1(VALU_DEP_4)
	v_fmac_f32_e32 v71, 0x3f167918, v10
	v_fmac_f32_e32 v66, 0xbf167918, v10
	s_delay_alu instid0(VALU_DEP_4)
	v_fmamk_f32 v68, v10, 0x3f737871, v34
	v_fmac_f32_e32 v34, 0xbf737871, v10
	v_sub_f32_e32 v10, v100, v9
	v_add_f32_e32 v4, v4, v6
	v_add_f32_e32 v6, v121, v23
	v_fmac_f32_e32 v68, 0x3f167918, v21
	v_dual_fmac_f32 v34, 0xbf167918, v21 :: v_dual_sub_f32 v21, v23, v11
	s_delay_alu instid0(VALU_DEP_3) | instskip(NEXT) | instid1(VALU_DEP_3)
	v_fma_f32 v6, -0.5, v6, v69
	v_fmac_f32_e32 v68, 0x3e9e377a, v14
	s_delay_alu instid0(VALU_DEP_3) | instskip(NEXT) | instid1(VALU_DEP_3)
	v_fmac_f32_e32 v34, 0x3e9e377a, v14
	v_fmamk_f32 v17, v10, 0xbf737871, v6
	v_fmac_f32_e32 v71, 0x3e9e377a, v4
	s_delay_alu instid0(VALU_DEP_2) | instskip(SKIP_3) | instid1(VALU_DEP_1)
	v_fmac_f32_e32 v17, 0xbf167918, v19
	v_fmac_f32_e32 v66, 0x3e9e377a, v4
	v_sub_f32_e32 v4, v3, v121
	v_sub_f32_e32 v14, v11, v23
	v_add_f32_e32 v4, v4, v14
	v_add_f32_e32 v14, v69, v3
	v_fmac_f32_e32 v69, -0.5, v15
	v_sub_f32_e32 v15, v121, v3
	s_delay_alu instid0(VALU_DEP_3) | instskip(NEXT) | instid1(VALU_DEP_3)
	v_dual_sub_f32 v3, v3, v11 :: v_dual_add_f32 v14, v14, v121
	v_fmamk_f32 v22, v19, 0x3f737871, v69
	v_fmac_f32_e32 v69, 0xbf737871, v19
	s_delay_alu instid0(VALU_DEP_4) | instskip(SKIP_1) | instid1(VALU_DEP_2)
	v_dual_fmac_f32 v6, 0x3f737871, v10 :: v_dual_add_f32 v15, v15, v21
	v_add_f32_e32 v21, v1, v100
	v_dual_fmac_f32 v69, 0x3f167918, v10 :: v_dual_fmac_f32 v6, 0x3f167918, v19
	v_dual_add_f32 v19, v100, v9 :: v_dual_fmac_f32 v22, 0xbf167918, v10
	s_delay_alu instid0(VALU_DEP_2) | instskip(SKIP_1) | instid1(VALU_DEP_4)
	v_dual_add_f32 v10, v125, v12 :: v_dual_fmac_f32 v69, 0x3e9e377a, v15
	v_fmac_f32_e32 v17, 0x3e9e377a, v4
	v_fmac_f32_e32 v6, 0x3e9e377a, v4
	s_delay_alu instid0(VALU_DEP_3) | instskip(SKIP_3) | instid1(VALU_DEP_4)
	v_fma_f32 v10, -0.5, v10, v1
	v_fmac_f32_e32 v1, -0.5, v19
	v_fmac_f32_e32 v22, 0x3e9e377a, v15
	v_sub_f32_e32 v15, v121, v23
	v_dual_add_f32 v14, v14, v23 :: v_dual_fmamk_f32 v23, v3, 0x3f737871, v10
	v_dual_sub_f32 v19, v125, v100 :: v_dual_sub_f32 v64, v12, v9
	s_delay_alu instid0(VALU_DEP_2) | instskip(NEXT) | instid1(VALU_DEP_3)
	v_dual_add_f32 v4, v14, v11 :: v_dual_sub_f32 v11, v100, v125
	v_dual_sub_f32 v14, v9, v12 :: v_dual_fmac_f32 v23, 0x3f167918, v15
	s_delay_alu instid0(VALU_DEP_1) | instskip(SKIP_2) | instid1(VALU_DEP_3)
	v_dual_add_f32 v11, v11, v14 :: v_dual_add_f32 v14, v21, v125
	v_fmamk_f32 v21, v15, 0xbf737871, v1
	v_fmac_f32_e32 v1, 0x3f737871, v15
	v_dual_fmac_f32 v23, 0x3e9e377a, v11 :: v_dual_add_f32 v12, v14, v12
	s_delay_alu instid0(VALU_DEP_3) | instskip(NEXT) | instid1(VALU_DEP_3)
	v_dual_fmac_f32 v21, 0x3f167918, v3 :: v_dual_add_f32 v14, v19, v64
	v_fmac_f32_e32 v1, 0xbf167918, v3
	s_delay_alu instid0(VALU_DEP_3) | instskip(NEXT) | instid1(VALU_DEP_3)
	v_dual_mul_f32 v64, 0xbf167918, v23 :: v_dual_add_f32 v9, v12, v9
	v_fmac_f32_e32 v21, 0x3e9e377a, v14
	s_delay_alu instid0(VALU_DEP_3) | instskip(NEXT) | instid1(VALU_DEP_3)
	v_dual_fmac_f32 v1, 0x3e9e377a, v14 :: v_dual_add_f32 v14, v8, v4
	v_fmac_f32_e32 v64, 0x3f4f1bbd, v17
	v_fmac_f32_e32 v10, 0xbf737871, v3
	s_delay_alu instid0(VALU_DEP_4) | instskip(NEXT) | instid1(VALU_DEP_1)
	v_mul_f32_e32 v12, 0xbf737871, v21
	v_fmac_f32_e32 v12, 0x3e9e377a, v22
	s_delay_alu instid0(VALU_DEP_1) | instskip(NEXT) | instid1(VALU_DEP_1)
	v_dual_fmac_f32 v10, 0xbf167918, v15 :: v_dual_add_f32 v19, v18, v12
	v_fmac_f32_e32 v10, 0x3e9e377a, v11
	v_mul_f32_e32 v11, 0x3f4f1bbd, v23
	v_sub_f32_e32 v23, v8, v4
	v_add_f32_e32 v15, v16, v64
	v_sub_f32_e32 v16, v16, v64
	v_mul_f32_e32 v84, 0xbf4f1bbd, v10
	v_fmac_f32_e32 v11, 0x3f167918, v17
	v_mul_f32_e32 v79, 0xbf167918, v10
	s_delay_alu instid0(VALU_DEP_3) | instskip(NEXT) | instid1(VALU_DEP_3)
	v_fmac_f32_e32 v84, 0x3f167918, v6
	v_dual_mul_f32 v80, 0x3e9e377a, v21 :: v_dual_add_f32 v3, v68, v11
	s_delay_alu instid0(VALU_DEP_3) | instskip(NEXT) | instid1(VALU_DEP_3)
	v_fmac_f32_e32 v79, 0xbf4f1bbd, v6
	v_dual_mul_f32 v77, 0xbf737871, v1 :: v_dual_add_f32 v8, v34, v84
	;; [unrolled: 3-line block ×3, first 2 shown]
	s_delay_alu instid0(VALU_DEP_3) | instskip(SKIP_1) | instid1(VALU_DEP_3)
	v_fmac_f32_e32 v77, 0xbe9e377a, v69
	v_add_f32_e32 v1, v67, v9
	v_dual_add_f32 v4, v71, v80 :: v_dual_fmac_f32 v81, 0x3f737871, v69
	v_sub_f32_e32 v9, v67, v9
	s_delay_alu instid0(VALU_DEP_4)
	v_add_f32_e32 v21, v20, v77
	v_dual_sub_f32 v17, v18, v12 :: v_dual_sub_f32 v18, v20, v77
	v_sub_f32_e32 v20, v13, v79
	v_dual_add_f32 v6, v66, v81 :: v_dual_add_f32 v13, v27, v30
	v_dual_sub_f32 v10, v68, v11 :: v_dual_sub_f32 v11, v71, v80
	v_dual_sub_f32 v12, v66, v81 :: v_dual_sub_f32 v67, v65, v30
	s_delay_alu instid0(VALU_DEP_3) | instskip(SKIP_3) | instid1(VALU_DEP_3)
	v_fma_f32 v64, -0.5, v13, v5
	v_dual_sub_f32 v66, v35, v95 :: v_dual_sub_f32 v13, v34, v84
	v_sub_f32_e32 v34, v129, v27
	v_dual_add_f32 v68, v129, v65 :: v_dual_sub_f32 v69, v44, v92
	v_fmamk_f32 v71, v66, 0xbf737871, v64
	v_fmac_f32_e32 v64, 0x3f737871, v66
	s_delay_alu instid0(VALU_DEP_4) | instskip(NEXT) | instid1(VALU_DEP_4)
	v_dual_add_f32 v34, v34, v67 :: v_dual_add_f32 v67, v5, v129
	v_fmac_f32_e32 v5, -0.5, v68
	v_sub_f32_e32 v77, v30, v65
	s_delay_alu instid0(VALU_DEP_4) | instskip(NEXT) | instid1(VALU_DEP_3)
	v_dual_fmac_f32 v64, 0x3f167918, v69 :: v_dual_sub_f32 v79, v94, v26
	v_dual_add_f32 v67, v67, v27 :: v_dual_fmamk_f32 v80, v69, 0x3f737871, v5
	v_fmac_f32_e32 v71, 0xbf167918, v69
	v_fmac_f32_e32 v5, 0xbf737871, v69
	v_sub_f32_e32 v69, v129, v65
	s_delay_alu instid0(VALU_DEP_4) | instskip(SKIP_2) | instid1(VALU_DEP_3)
	v_add_f32_e32 v67, v67, v30
	v_fmac_f32_e32 v80, 0xbf167918, v66
	v_dual_sub_f32 v68, v27, v129 :: v_dual_fmac_f32 v71, 0x3e9e377a, v34
	v_dual_fmac_f32 v64, 0x3e9e377a, v34 :: v_dual_add_f32 v85, v67, v65
	v_add_f32_e32 v34, v7, v35
	s_delay_alu instid0(VALU_DEP_3) | instskip(SKIP_1) | instid1(VALU_DEP_3)
	v_dual_add_f32 v68, v68, v77 :: v_dual_fmac_f32 v5, 0x3f167918, v66
	v_dual_add_f32 v66, v44, v92 :: v_dual_add_f32 v77, v35, v95
	v_add_f32_e32 v34, v34, v44
	s_delay_alu instid0(VALU_DEP_3)
	v_fmac_f32_e32 v80, 0x3e9e377a, v68
	v_sub_f32_e32 v67, v35, v44
	v_sub_f32_e32 v27, v27, v30
	v_fma_f32 v65, -0.5, v66, v7
	v_add_f32_e32 v34, v34, v92
	v_fmac_f32_e32 v5, 0x3e9e377a, v68
	v_dual_sub_f32 v68, v95, v92 :: v_dual_fmac_f32 v7, -0.5, v77
	s_delay_alu instid0(VALU_DEP_3) | instskip(SKIP_1) | instid1(VALU_DEP_3)
	v_dual_sub_f32 v77, v93, v25 :: v_dual_add_f32 v66, v34, v95
	v_sub_f32_e32 v34, v44, v35
	v_dual_add_f32 v30, v67, v68 :: v_dual_fmamk_f32 v67, v69, 0x3f737871, v65
	v_fmac_f32_e32 v65, 0xbf737871, v69
	v_dual_fmamk_f32 v68, v27, 0xbf737871, v7 :: v_dual_sub_f32 v35, v92, v95
	v_fmac_f32_e32 v7, 0x3f737871, v27
	s_delay_alu instid0(VALU_DEP_4) | instskip(NEXT) | instid1(VALU_DEP_4)
	v_fmac_f32_e32 v67, 0x3f167918, v27
	v_fmac_f32_e32 v65, 0xbf167918, v27
	s_delay_alu instid0(VALU_DEP_4)
	v_dual_fmac_f32 v68, 0x3f167918, v69 :: v_dual_add_f32 v27, v34, v35
	v_add_f32_e32 v44, v29, v26
	v_add_f32_e32 v34, v24, v94
	v_fmac_f32_e32 v67, 0x3e9e377a, v30
	ds_store_2addr_b32 v31, v14, v15 offset1:30
	ds_store_2addr_b32 v31, v19, v21 offset0:60 offset1:90
	ds_store_2addr_b32 v31, v22, v23 offset0:120 offset1:150
	v_fmac_f32_e32 v68, 0x3e9e377a, v27
	v_mul_u32_u24_e32 v19, 0x4b0, v39
	v_fma_f32 v35, -0.5, v34, v134
	v_sub_f32_e32 v34, v26, v94
	v_dual_fmac_f32 v65, 0x3e9e377a, v30 :: v_dual_sub_f32 v30, v46, v76
	v_fmac_f32_e32 v7, 0xbf167918, v69
	v_lshlrev_b32_e32 v21, 2, v41
	v_add_nc_u32_e32 v14, 0x200, v31
	v_add3_u32 v15, 0, v38, v40
	s_delay_alu instid0(VALU_DEP_4) | instskip(SKIP_1) | instid1(VALU_DEP_1)
	v_fmac_f32_e32 v7, 0x3e9e377a, v27
	v_sub_f32_e32 v27, v29, v24
	v_dual_add_f32 v27, v27, v34 :: v_dual_add_f32 v34, v134, v29
	v_fmac_f32_e32 v134, -0.5, v44
	v_dual_sub_f32 v44, v24, v29 :: v_dual_fmamk_f32 v69, v30, 0xbf737871, v35
	s_delay_alu instid0(VALU_DEP_3) | instskip(NEXT) | instid1(VALU_DEP_3)
	v_dual_add_f32 v34, v34, v24 :: v_dual_fmac_f32 v35, 0x3f737871, v30
	v_fmamk_f32 v92, v77, 0x3f737871, v134
	v_fmac_f32_e32 v134, 0xbf737871, v77
	s_delay_alu instid0(VALU_DEP_4) | instskip(NEXT) | instid1(VALU_DEP_4)
	v_dual_add_f32 v44, v44, v79 :: v_dual_fmac_f32 v69, 0xbf167918, v77
	v_dual_add_f32 v34, v34, v94 :: v_dual_fmac_f32 v35, 0x3f167918, v77
	s_delay_alu instid0(VALU_DEP_3) | instskip(SKIP_2) | instid1(VALU_DEP_4)
	v_fmac_f32_e32 v134, 0x3f167918, v30
	v_fmac_f32_e32 v92, 0xbf167918, v30
	v_sub_f32_e32 v24, v24, v94
	v_add_f32_e32 v95, v34, v26
	v_add_f32_e32 v34, v46, v76
	v_fmac_f32_e32 v134, 0x3e9e377a, v44
	v_dual_fmac_f32 v92, 0x3e9e377a, v44 :: v_dual_fmac_f32 v69, 0x3e9e377a, v27
	v_dual_sub_f32 v26, v29, v26 :: v_dual_fmac_f32 v35, 0x3e9e377a, v27
	v_add_f32_e32 v27, v93, v25
	v_dual_sub_f32 v29, v46, v93 :: v_dual_add_f32 v44, v43, v46
	s_delay_alu instid0(VALU_DEP_2) | instskip(SKIP_3) | instid1(VALU_DEP_4)
	v_fma_f32 v30, -0.5, v27, v43
	v_sub_f32_e32 v27, v76, v25
	v_fmac_f32_e32 v43, -0.5, v34
	v_sub_f32_e32 v34, v93, v46
	v_dual_sub_f32 v46, v25, v76 :: v_dual_fmamk_f32 v77, v26, 0x3f737871, v30
	s_delay_alu instid0(VALU_DEP_4) | instskip(SKIP_3) | instid1(VALU_DEP_4)
	v_dual_add_f32 v27, v29, v27 :: v_dual_fmac_f32 v30, 0xbf737871, v26
	v_add_f32_e32 v29, v44, v93
	v_fmamk_f32 v44, v24, 0xbf737871, v43
	v_fmac_f32_e32 v43, 0x3f737871, v24
	v_fmac_f32_e32 v30, 0xbf167918, v24
	s_delay_alu instid0(VALU_DEP_3) | instskip(SKIP_1) | instid1(VALU_DEP_4)
	v_dual_fmac_f32 v44, 0x3f167918, v26 :: v_dual_fmac_f32 v77, 0x3f167918, v24
	v_dual_add_f32 v24, v29, v25 :: v_dual_add_f32 v25, v34, v46
	v_fmac_f32_e32 v43, 0xbf167918, v26
	s_delay_alu instid0(VALU_DEP_4) | instskip(NEXT) | instid1(VALU_DEP_3)
	v_fmac_f32_e32 v30, 0x3e9e377a, v27
	v_dual_fmac_f32 v77, 0x3e9e377a, v27 :: v_dual_add_f32 v76, v24, v76
	s_delay_alu instid0(VALU_DEP_4) | instskip(NEXT) | instid1(VALU_DEP_4)
	v_dual_fmac_f32 v44, 0x3e9e377a, v25 :: v_dual_add_f32 v27, v85, v95
	v_fmac_f32_e32 v43, 0x3e9e377a, v25
	s_delay_alu instid0(VALU_DEP_3) | instskip(NEXT) | instid1(VALU_DEP_4)
	v_mul_f32_e32 v46, 0xbf167918, v77
	v_dual_mul_f32 v77, 0x3f4f1bbd, v77 :: v_dual_add_f32 v24, v66, v76
	v_mul_f32_e32 v79, 0xbf167918, v30
	s_delay_alu instid0(VALU_DEP_4) | instskip(NEXT) | instid1(VALU_DEP_3)
	v_mul_f32_e32 v84, 0xbe9e377a, v43
	v_fmac_f32_e32 v77, 0x3f167918, v69
	s_delay_alu instid0(VALU_DEP_3) | instskip(SKIP_4) | instid1(VALU_DEP_3)
	v_fmac_f32_e32 v79, 0xbf4f1bbd, v35
	v_fmac_f32_e32 v46, 0x3f4f1bbd, v69
	v_mul_f32_e32 v69, 0xbf4f1bbd, v30
	v_mul_f32_e32 v81, 0x3e9e377a, v44
	v_fmac_f32_e32 v84, 0x3f737871, v134
	v_fmac_f32_e32 v69, 0x3f167918, v35
	v_dual_add_f32 v35, v64, v79 :: v_dual_mul_f32 v26, 0xbf737871, v44
	v_add_f32_e32 v29, v71, v46
	v_dual_mul_f32 v93, 0xbf737871, v43 :: v_dual_sub_f32 v44, v71, v46
	s_delay_alu instid0(VALU_DEP_3) | instskip(NEXT) | instid1(VALU_DEP_2)
	v_dual_sub_f32 v43, v85, v95 :: v_dual_fmac_f32 v26, 0x3e9e377a, v92
	v_dual_sub_f32 v64, v64, v79 :: v_dual_fmac_f32 v93, 0xbe9e377a, v134
	v_fmac_f32_e32 v81, 0x3f737871, v92
	v_sub_f32_e32 v92, v58, v60
	s_delay_alu instid0(VALU_DEP_4)
	v_add_f32_e32 v30, v80, v26
	v_sub_f32_e32 v46, v80, v26
	v_add_f32_e32 v34, v5, v93
	v_add_f32_e32 v25, v67, v77
	v_sub_f32_e32 v5, v5, v93
	v_dual_sub_f32 v80, v67, v77 :: v_dual_sub_f32 v67, v56, v62
	v_add_f32_e32 v85, v59, v61
	v_dual_add_f32 v26, v68, v81 :: v_dual_add_f32 v71, v7, v84
	v_dual_sub_f32 v79, v66, v76 :: v_dual_sub_f32 v76, v63, v61
	s_delay_alu instid0(VALU_DEP_3) | instskip(SKIP_2) | instid1(VALU_DEP_3)
	v_fma_f32 v66, -0.5, v85, v0
	v_dual_sub_f32 v7, v7, v84 :: v_dual_add_f32 v84, v57, v63
	v_dual_sub_f32 v81, v68, v81 :: v_dual_sub_f32 v68, v57, v59
	v_fmamk_f32 v77, v67, 0xbf737871, v66
	v_fmac_f32_e32 v66, 0x3f737871, v67
	ds_store_2addr_b32 v31, v16, v17 offset0:180 offset1:210
	ds_store_2addr_b32 v14, v18, v20 offset0:112 offset1:142
	ds_store_2addr_b32 v15, v27, v29 offset1:30
	v_add3_u32 v17, 0, v19, v21
	v_add_f32_e32 v68, v68, v76
	v_dual_add_f32 v76, v0, v57 :: v_dual_fmac_f32 v77, 0xbf167918, v92
	v_fmac_f32_e32 v66, 0x3f167918, v92
	v_dual_fmac_f32 v0, -0.5, v84 :: v_dual_add_f32 v85, v65, v69
	s_delay_alu instid0(VALU_DEP_3) | instskip(NEXT) | instid1(VALU_DEP_3)
	v_dual_sub_f32 v84, v65, v69 :: v_dual_add_f32 v65, v76, v59
	v_dual_fmac_f32 v66, 0x3e9e377a, v68 :: v_dual_sub_f32 v69, v59, v57
	v_dual_sub_f32 v76, v61, v63 :: v_dual_fmac_f32 v77, 0x3e9e377a, v68
	s_delay_alu instid0(VALU_DEP_4) | instskip(NEXT) | instid1(VALU_DEP_4)
	v_fmamk_f32 v68, v92, 0x3f737871, v0
	v_dual_fmac_f32 v0, 0xbf737871, v92 :: v_dual_add_f32 v65, v65, v61
	v_add_f32_e32 v92, v2, v56
	s_delay_alu instid0(VALU_DEP_3) | instskip(NEXT) | instid1(VALU_DEP_3)
	v_dual_add_f32 v93, v58, v60 :: v_dual_fmac_f32 v68, 0xbf167918, v67
	v_fmac_f32_e32 v0, 0x3f167918, v67
	s_delay_alu instid0(VALU_DEP_4) | instskip(SKIP_1) | instid1(VALU_DEP_4)
	v_add_f32_e32 v67, v65, v63
	v_sub_f32_e32 v57, v57, v63
	v_fma_f32 v65, -0.5, v93, v2
	v_add_f32_e32 v63, v56, v62
	v_dual_add_f32 v69, v69, v76 :: v_dual_add_f32 v76, v92, v58
	v_dual_sub_f32 v59, v59, v61 :: v_dual_sub_f32 v92, v62, v60
	s_delay_alu instid0(VALU_DEP_3) | instskip(NEXT) | instid1(VALU_DEP_3)
	v_fmac_f32_e32 v2, -0.5, v63
	v_fmac_f32_e32 v68, 0x3e9e377a, v69
	s_delay_alu instid0(VALU_DEP_4) | instskip(SKIP_3) | instid1(VALU_DEP_3)
	v_dual_fmac_f32 v0, 0x3e9e377a, v69 :: v_dual_add_f32 v69, v76, v60
	v_dual_fmamk_f32 v76, v57, 0x3f737871, v65 :: v_dual_sub_f32 v61, v56, v58
	v_dual_fmac_f32 v65, 0xbf737871, v57 :: v_dual_sub_f32 v56, v58, v56
	v_sub_f32_e32 v58, v60, v62
	v_dual_fmac_f32 v76, 0x3f167918, v59 :: v_dual_add_f32 v61, v61, v92
	v_add_f32_e32 v63, v69, v62
	s_delay_alu instid0(VALU_DEP_4) | instskip(NEXT) | instid1(VALU_DEP_4)
	v_dual_fmac_f32 v65, 0xbf167918, v59 :: v_dual_add_f32 v60, v50, v53
	v_dual_fmamk_f32 v69, v59, 0xbf737871, v2 :: v_dual_add_f32 v56, v56, v58
	v_dual_fmac_f32 v2, 0x3f737871, v59 :: v_dual_sub_f32 v59, v51, v50
	s_delay_alu instid0(VALU_DEP_3) | instskip(NEXT) | instid1(VALU_DEP_3)
	v_fmac_f32_e32 v65, 0x3e9e377a, v61
	v_dual_fmac_f32 v69, 0x3f167918, v57 :: v_dual_add_f32 v62, v51, v55
	v_fma_f32 v58, -0.5, v60, v28
	v_sub_f32_e32 v60, v47, v54
	v_dual_fmac_f32 v2, 0xbf167918, v57 :: v_dual_add_f32 v57, v28, v51
	v_fmac_f32_e32 v76, 0x3e9e377a, v61
	s_delay_alu instid0(VALU_DEP_3) | instskip(SKIP_1) | instid1(VALU_DEP_2)
	v_dual_sub_f32 v61, v55, v53 :: v_dual_fmamk_f32 v92, v60, 0xbf737871, v58
	v_dual_sub_f32 v93, v49, v48 :: v_dual_fmac_f32 v28, -0.5, v62
	v_dual_fmac_f32 v58, 0x3f737871, v60 :: v_dual_add_f32 v59, v59, v61
	s_delay_alu instid0(VALU_DEP_2) | instskip(SKIP_1) | instid1(VALU_DEP_3)
	v_dual_add_f32 v57, v57, v50 :: v_dual_fmac_f32 v92, 0xbf167918, v93
	v_fmac_f32_e32 v69, 0x3e9e377a, v56
	v_dual_fmac_f32 v58, 0x3f167918, v93 :: v_dual_sub_f32 v61, v50, v51
	v_sub_f32_e32 v62, v53, v55
	v_fmac_f32_e32 v2, 0x3e9e377a, v56
	v_add_f32_e32 v56, v57, v53
	v_fmamk_f32 v57, v93, 0x3f737871, v28
	v_fmac_f32_e32 v92, 0x3e9e377a, v59
	v_fmac_f32_e32 v58, 0x3e9e377a, v59
	v_dual_fmac_f32 v28, 0xbf737871, v93 :: v_dual_sub_f32 v51, v51, v55
	s_delay_alu instid0(VALU_DEP_4) | instskip(SKIP_2) | instid1(VALU_DEP_4)
	v_dual_add_f32 v56, v56, v55 :: v_dual_fmac_f32 v57, 0xbf167918, v60
	v_add_f32_e32 v59, v61, v62
	v_add_f32_e32 v61, v49, v48
	v_dual_add_f32 v55, v47, v54 :: v_dual_fmac_f32 v28, 0x3f167918, v60
	v_add_f32_e32 v60, v45, v47
	v_sub_f32_e32 v50, v50, v53
	s_delay_alu instid0(VALU_DEP_4) | instskip(NEXT) | instid1(VALU_DEP_4)
	v_fma_f32 v61, -0.5, v61, v45
	v_fmac_f32_e32 v45, -0.5, v55
	v_sub_f32_e32 v53, v47, v49
	v_dual_sub_f32 v55, v54, v48 :: v_dual_fmac_f32 v28, 0x3e9e377a, v59
	s_delay_alu instid0(VALU_DEP_3)
	v_dual_sub_f32 v93, v48, v54 :: v_dual_fmamk_f32 v62, v50, 0xbf737871, v45
	v_sub_f32_e32 v47, v49, v47
	v_dual_add_f32 v49, v60, v49 :: v_dual_add_nc_u32 v16, 0x200, v15
	ds_store_2addr_b32 v15, v30, v34 offset0:60 offset1:90
	ds_store_2addr_b32 v15, v35, v43 offset0:120 offset1:150
	;; [unrolled: 1-line block ×4, first 2 shown]
	v_fmac_f32_e32 v62, 0x3f167918, v51
	v_dual_fmac_f32 v57, 0x3e9e377a, v59 :: v_dual_add_f32 v48, v49, v48
	v_add_f32_e32 v47, v47, v93
	v_fmac_f32_e32 v45, 0x3f737871, v50
	v_fmamk_f32 v59, v51, 0x3f737871, v61
	v_fmac_f32_e32 v61, 0xbf737871, v51
	v_add_nc_u32_e32 v5, 0x200, v17
	v_fmac_f32_e32 v62, 0x3e9e377a, v47
	v_fmac_f32_e32 v45, 0xbf167918, v51
	v_add_f32_e32 v51, v48, v54
	v_add_f32_e32 v53, v53, v55
	v_fmac_f32_e32 v59, 0x3f167918, v50
	v_mul_f32_e32 v54, 0xbf737871, v62
	v_fmac_f32_e32 v45, 0x3e9e377a, v47
	v_dual_add_f32 v47, v67, v56 :: v_dual_mul_f32 v62, 0x3e9e377a, v62
	v_sub_f32_e32 v56, v67, v56
	s_delay_alu instid0(VALU_DEP_4) | instskip(NEXT) | instid1(VALU_DEP_4)
	v_fmac_f32_e32 v54, 0x3e9e377a, v57
	v_mul_f32_e32 v55, 0xbf737871, v45
	v_mul_f32_e32 v45, 0xbe9e377a, v45
	v_fmac_f32_e32 v62, 0x3f737871, v57
	s_delay_alu instid0(VALU_DEP_3) | instskip(NEXT) | instid1(VALU_DEP_3)
	v_dual_sub_f32 v96, v63, v51 :: v_dual_fmac_f32 v55, 0xbe9e377a, v28
	v_dual_fmac_f32 v45, 0x3f737871, v28 :: v_dual_add_f32 v28, v63, v51
	v_fmac_f32_e32 v59, 0x3e9e377a, v53
	v_fmac_f32_e32 v61, 0xbf167918, v50
	s_delay_alu instid0(VALU_DEP_4) | instskip(NEXT) | instid1(VALU_DEP_4)
	v_add_f32_e32 v95, v0, v55
	v_dual_sub_f32 v0, v0, v55 :: v_dual_add_f32 v93, v2, v45
	s_delay_alu instid0(VALU_DEP_4) | instskip(NEXT) | instid1(VALU_DEP_4)
	v_mul_f32_e32 v50, 0xbf167918, v59
	v_fmac_f32_e32 v61, 0x3e9e377a, v53
	v_dual_mul_f32 v59, 0x3f4f1bbd, v59 :: v_dual_sub_f32 v2, v2, v45
	v_sub_f32_e32 v98, v69, v62
	s_delay_alu instid0(VALU_DEP_4) | instskip(NEXT) | instid1(VALU_DEP_3)
	v_fmac_f32_e32 v50, 0x3f4f1bbd, v92
	v_dual_fmac_f32 v59, 0x3f167918, v92 :: v_dual_add_f32 v92, v69, v62
	v_mul_f32_e32 v60, 0xbf167918, v61
	s_delay_alu instid0(VALU_DEP_3) | instskip(NEXT) | instid1(VALU_DEP_3)
	v_dual_mul_f32 v61, 0xbf4f1bbd, v61 :: v_dual_add_f32 v48, v77, v50
	v_dual_sub_f32 v50, v77, v50 :: v_dual_add_f32 v53, v76, v59
	s_delay_alu instid0(VALU_DEP_3) | instskip(NEXT) | instid1(VALU_DEP_3)
	v_fmac_f32_e32 v60, 0xbf4f1bbd, v58
	v_fmac_f32_e32 v61, 0x3f167918, v58
	v_add_f32_e32 v49, v68, v54
	v_sub_f32_e32 v54, v68, v54
	v_sub_f32_e32 v97, v76, v59
	v_add_f32_e32 v57, v66, v60
	v_dual_sub_f32 v55, v66, v60 :: v_dual_add_f32 v94, v65, v61
	v_sub_f32_e32 v99, v65, v61
	ds_store_2addr_b32 v17, v47, v48 offset1:30
	ds_store_2addr_b32 v17, v49, v95 offset0:60 offset1:90
	ds_store_2addr_b32 v17, v57, v56 offset0:120 offset1:150
	;; [unrolled: 1-line block ×4, first 2 shown]
	global_wb scope:SCOPE_SE
	s_wait_dscnt 0x0
	s_barrier_signal -1
	s_barrier_wait -1
	global_inv scope:SCOPE_SE
	ds_load_2addr_b32 v[40:41], v82 offset1:100
	ds_load_2addr_b32 v[42:43], v75 offset0:72 offset1:172
	ds_load_2addr_b32 v[60:61], v88 offset0:88 offset1:188
	;; [unrolled: 1-line block ×14, first 2 shown]
	global_wb scope:SCOPE_SE
	s_wait_dscnt 0x0
	s_barrier_signal -1
	s_barrier_wait -1
	global_inv scope:SCOPE_SE
	ds_store_2addr_b32 v31, v1, v3 offset1:30
	ds_store_2addr_b32 v31, v4, v6 offset0:60 offset1:90
	ds_store_2addr_b32 v31, v8, v9 offset0:120 offset1:150
	ds_store_2addr_b32 v31, v10, v11 offset0:180 offset1:210
	ds_store_2addr_b32 v14, v12, v13 offset0:112 offset1:142
	ds_store_2addr_b32 v15, v24, v25 offset1:30
	ds_store_2addr_b32 v15, v26, v71 offset0:60 offset1:90
	ds_store_2addr_b32 v15, v85, v79 offset0:120 offset1:150
	ds_store_2addr_b32 v15, v80, v81 offset0:180 offset1:210
	ds_store_2addr_b32 v16, v7, v84 offset0:112 offset1:142
	ds_store_2addr_b32 v17, v28, v53 offset1:30
	ds_store_2addr_b32 v17, v92, v93 offset0:60 offset1:90
	ds_store_2addr_b32 v17, v94, v96 offset0:120 offset1:150
	ds_store_2addr_b32 v17, v97, v98 offset0:180 offset1:210
	ds_store_2addr_b32 v5, v2, v99 offset0:112 offset1:142
	global_wb scope:SCOPE_SE
	s_wait_dscnt 0x0
	s_barrier_signal -1
	s_barrier_wait -1
	global_inv scope:SCOPE_SE
	s_and_saveexec_b32 s2, vcc_lo
	s_cbranch_execz .LBB0_15
; %bb.14:
	v_mul_u32_u24_e32 v0, 9, v52
	v_mad_u32_u24 v38, v52, 9, 0xfffffc7c
	v_mad_co_u64_u32 v[52:53], null, s0, v32, 0
	v_mul_lo_u32 v33, s0, v33
	s_delay_alu instid0(VALU_DEP_4)
	v_dual_mov_b32 v39, 0 :: v_dual_lshlrev_b32 v16, 3, v0
	s_clause 0x4
	global_load_b128 v[0:3], v16, s[8:9] offset:2320
	global_load_b128 v[12:15], v16, s[8:9] offset:2336
	;; [unrolled: 1-line block ×4, first 2 shown]
	global_load_b64 v[84:85], v16, s[8:9] offset:2384
	v_lshlrev_b64_e32 v[16:17], 3, v[38:39]
	s_delay_alu instid0(VALU_DEP_1) | instskip(SKIP_1) | instid1(VALU_DEP_2)
	v_add_co_u32 v34, vcc_lo, s8, v16
	s_wait_alu 0xfffd
	v_add_co_ci_u32_e32 v35, vcc_lo, s9, v17, vcc_lo
	s_clause 0x4
	global_load_b128 v[28:31], v[34:35], off offset:2320
	global_load_b128 v[20:23], v[34:35], off offset:2336
	;; [unrolled: 1-line block ×4, first 2 shown]
	global_load_b64 v[94:95], v[34:35], off offset:2384
	v_mul_lo_u32 v34, s1, v32
	v_mul_u32_u24_e32 v32, 9, v102
	ds_load_2addr_b32 v[70:71], v70 offset0:32 offset1:132
	ds_load_2addr_b32 v[80:81], v72 offset0:120 offset1:220
	ds_load_2addr_b32 v[72:73], v73 offset0:40 offset1:140
	ds_load_2addr_b32 v[78:79], v78 offset0:80 offset1:180
	ds_load_2addr_b32 v[100:101], v74 offset0:104 offset1:204
	ds_load_2addr_b32 v[74:75], v75 offset0:72 offset1:172
	ds_load_2addr_b32 v[98:99], v89 offset0:64 offset1:164
	ds_load_2addr_b32 v[96:97], v91 offset0:112 offset1:212
	ds_load_2addr_b32 v[115:116], v86 offset0:152 offset1:252
	ds_load_2addr_b32 v[117:118], v87 offset0:144 offset1:244
	ds_load_2addr_b32 v[92:93], v88 offset0:88 offset1:188
	ds_load_2addr_b32 v[88:89], v83 offset0:48 offset1:148
	ds_load_2addr_b32 v[90:91], v90 offset0:96 offset1:196
	ds_load_2addr_b32 v[86:87], v103 offset0:8 offset1:108
	ds_load_2addr_b32 v[82:83], v82 offset1:100
	v_lshlrev_b32_e32 v38, 3, v32
	v_add3_u32 v53, v53, v33, v34
	s_wait_loadcnt_dscnt 0x805
	v_dual_mul_f32 v128, v1, v118 :: v_dual_mul_f32 v121, v50, v15
	s_clause 0x4
	global_load_b128 v[32:35], v38, s[8:9] offset:2320
	global_load_b128 v[103:106], v38, s[8:9] offset:2336
	;; [unrolled: 1-line block ×4, first 2 shown]
	global_load_b64 v[119:120], v38, s[8:9] offset:2384
	v_mul_f32_e32 v38, v44, v3
	s_wait_loadcnt 0xc
	v_mul_f32_e32 v122, v46, v7
	s_wait_loadcnt 0xb
	v_dual_mul_f32 v123, v48, v11 :: v_dual_mul_f32 v124, v13, v101
	s_wait_loadcnt 0xa
	v_dual_mul_f32 v15, v80, v15 :: v_dual_mul_f32 v126, v85, v97
	v_mul_f32_e32 v13, v67, v13
	v_mul_f32_e32 v3, v70, v3
	v_dual_mul_f32 v11, v78, v11 :: v_dual_fmac_f32 v124, v67, v12
	s_delay_alu instid0(VALU_DEP_4)
	v_dual_mul_f32 v125, v9, v99 :: v_dual_fmac_f32 v126, v63, v84
	v_mul_f32_e32 v7, v72, v7
	v_mul_f32_e32 v127, v5, v116
	;; [unrolled: 1-line block ×4, first 2 shown]
	v_dual_mul_f32 v85, v63, v85 :: v_dual_fmac_f32 v128, v77, v0
	v_fma_f32 v80, v14, v80, -v121
	v_fmac_f32_e32 v15, v50, v14
	v_fma_f32 v12, v12, v101, -v13
	v_fma_f32 v13, v10, v78, -v123
	v_fmac_f32_e32 v11, v48, v10
	v_fma_f32 v10, v2, v70, -v38
	v_fma_f32 v14, v6, v72, -v122
	s_wait_loadcnt 0x7
	v_dual_fmac_f32 v3, v44, v2 :: v_dual_mul_f32 v48, v25, v115
	v_dual_mul_f32 v38, v29, v117 :: v_dual_fmac_f32 v7, v46, v6
	s_wait_loadcnt 0x6
	v_dual_mul_f32 v6, v55, v19 :: v_dual_fmac_f32 v127, v69, v4
	s_wait_dscnt 0x1
	v_mul_f32_e32 v44, v87, v19
	v_fma_f32 v2, v4, v116, -v5
	v_sub_f32_e32 v116, v124, v126
	v_mul_f32_e32 v4, v57, v23
	v_mul_f32_e32 v46, v21, v100
	v_dual_fmac_f32 v125, v65, v8 :: v_dual_sub_f32 v72, v15, v11
	v_fma_f32 v8, v8, v99, -v9
	v_fma_f32 v9, v84, v97, -v85
	v_dual_mul_f32 v5, v59, v27 :: v_dual_mul_f32 v50, v17, v98
	v_mul_f32_e32 v19, v68, v25
	s_wait_loadcnt 0x5
	v_dual_mul_f32 v25, v62, v95 :: v_dual_fmac_f32 v38, v76, v28
	v_add_f32_e32 v84, v125, v127
	v_dual_mul_f32 v1, v77, v1 :: v_dual_sub_f32 v70, v3, v7
	v_dual_mul_f32 v17, v64, v17 :: v_dual_sub_f32 v136, v7, v11
	;; [unrolled: 1-line block ×3, first 2 shown]
	s_delay_alu instid0(VALU_DEP_3)
	v_fma_f32 v0, v0, v118, -v1
	v_dual_mul_f32 v1, v61, v31 :: v_dual_sub_f32 v130, v127, v126
	v_dual_mul_f32 v31, v93, v31 :: v_dual_sub_f32 v132, v8, v12
	;; [unrolled: 1-line block ×3, first 2 shown]
	v_dual_add_f32 v123, v10, v14 :: v_dual_fmac_f32 v50, v64, v16
	v_sub_f32_e32 v76, v3, v15
	v_fma_f32 v19, v24, v115, -v19
	v_fma_f32 v16, v16, v98, -v17
	;; [unrolled: 1-line block ×3, first 2 shown]
	v_dual_mul_f32 v27, v91, v27 :: v_dual_sub_f32 v122, v13, v14
	v_mul_f32_e32 v21, v66, v21
	v_sub_f32_e32 v65, v10, v80
	v_dual_sub_f32 v77, v124, v125 :: v_dual_fmac_f32 v46, v66, v20
	v_dual_sub_f32 v99, v9, v2 :: v_dual_fmac_f32 v48, v68, v24
	v_fma_f32 v1, v30, v93, -v1
	v_dual_fmac_f32 v63, v62, v94 :: v_dual_sub_f32 v98, v19, v17
	v_dual_fmac_f32 v31, v61, v30 :: v_dual_sub_f32 v30, v15, v3
	v_sub_f32_e32 v61, v11, v7
	v_sub_f32_e32 v121, v80, v10
	v_dual_mul_f32 v23, v89, v23 :: v_dual_add_f32 v134, v12, v9
	v_sub_f32_e32 v67, v14, v13
	v_add_f32_e32 v69, v80, v13
	v_dual_sub_f32 v85, v12, v9 :: v_dual_fmac_f32 v44, v55, v18
	v_fma_f32 v28, v28, v117, -v29
	v_add_f32_e32 v29, v15, v11
	v_fma_f32 v5, v26, v91, -v5
	v_fmac_f32_e32 v27, v59, v26
	v_add_f32_e32 v131, v124, v126
	v_fma_f32 v4, v22, v89, -v4
	v_fma_f32 v6, v18, v87, -v6
	v_dual_add_f32 v30, v30, v61 :: v_dual_sub_f32 v97, v12, v8
	v_add_f32_e32 v24, v121, v122
	v_add_f32_e32 v101, v8, v2
	v_dual_add_f32 v12, v12, v0 :: v_dual_add_f32 v135, v10, v74
	v_sub_f32_e32 v133, v2, v9
	v_sub_f32_e32 v129, v125, v124
	v_add_f32_e32 v124, v124, v128
	v_fma_f32 v20, v20, v100, -v21
	v_add_f32_e32 v93, v3, v7
	v_add_f32_e32 v3, v42, v3
	v_dual_sub_f32 v95, v8, v2 :: v_dual_add_f32 v18, v65, v67
	v_dual_sub_f32 v10, v10, v14 :: v_dual_sub_f32 v117, v80, v13
	v_sub_f32_e32 v66, v5, v6
	v_dual_fmac_f32 v23, v57, v22 :: v_dual_sub_f32 v96, v48, v63
	v_add_f32_e32 v21, v77, v78
	v_add_f32_e32 v22, v97, v99
	v_fma_f32 v25, -0.5, v69, v74
	v_fma_f32 v26, -0.5, v84, v128
	;; [unrolled: 1-line block ×5, first 2 shown]
	v_add_f32_e32 v8, v8, v12
	v_add_f32_e32 v0, v80, v135
	;; [unrolled: 1-line block ×3, first 2 shown]
	v_fma_f32 v29, -0.5, v29, v42
	v_sub_f32_e32 v61, v1, v4
	v_add_f32_e32 v67, v4, v6
	v_sub_f32_e32 v74, v46, v50
	v_sub_f32_e32 v76, v63, v48
	;; [unrolled: 1-line block ×3, first 2 shown]
	v_fma_f32 v42, -0.5, v93, v42
	v_sub_f32_e32 v80, v16, v19
	v_sub_f32_e32 v68, v31, v27
	v_fma_f32 v62, -0.5, v131, v128
	v_dual_sub_f32 v84, v20, v16 :: v_dual_add_f32 v3, v3, v15
	v_dual_sub_f32 v94, v50, v46 :: v_dual_add_f32 v15, v125, v124
	v_sub_f32_e32 v122, v46, v63
	v_sub_f32_e32 v87, v17, v19
	;; [unrolled: 1-line block ×3, first 2 shown]
	v_add_f32_e32 v99, v20, v17
	s_wait_dscnt 0x0
	v_dual_add_f32 v20, v20, v28 :: v_dual_add_f32 v123, v1, v83
	v_dual_add_f32 v64, v132, v133 :: v_dual_add_f32 v59, v129, v130
	v_sub_f32_e32 v100, v31, v23
	v_sub_f32_e32 v69, v23, v44
	v_add_f32_e32 v77, v50, v48
	v_dual_add_f32 v89, v16, v19 :: v_dual_add_f32 v0, v13, v0
	v_dual_sub_f32 v91, v4, v1 :: v_dual_add_f32 v2, v2, v8
	v_dual_sub_f32 v93, v6, v5 :: v_dual_fmamk_f32 v134, v117, 0xbf737871, v42
	v_sub_f32_e32 v101, v27, v44
	v_dual_sub_f32 v115, v23, v31 :: v_dual_fmac_f32 v42, 0x3f737871, v117
	v_dual_sub_f32 v121, v44, v27 :: v_dual_sub_f32 v124, v50, v48
	v_dual_sub_f32 v128, v4, v6 :: v_dual_add_f32 v129, v46, v63
	v_add_f32_e32 v16, v16, v20
	v_dual_add_f32 v130, v23, v44 :: v_dual_add_f32 v125, v1, v5
	v_dual_add_f32 v3, v3, v11 :: v_dual_add_f32 v2, v9, v2
	v_dual_add_f32 v8, v127, v15 :: v_dual_fmamk_f32 v11, v70, 0xbf737871, v25
	v_fmamk_f32 v13, v85, 0x3f737871, v26
	v_fmac_f32_e32 v26, 0xbf737871, v85
	v_fma_f32 v67, -0.5, v67, v83
	s_delay_alu instid0(VALU_DEP_4) | instskip(SKIP_4) | instid1(VALU_DEP_4)
	v_dual_add_f32 v8, v126, v8 :: v_dual_fmamk_f32 v127, v95, 0xbf737871, v62
	v_dual_fmac_f32 v62, 0x3f737871, v95 :: v_dual_add_f32 v61, v61, v66
	v_add_f32_e32 v66, v74, v76
	v_add_f32_e32 v74, v84, v87
	;; [unrolled: 1-line block ×3, first 2 shown]
	v_fmac_f32_e32 v62, 0xbf167918, v85
	v_dual_sub_f32 v131, v1, v5 :: v_dual_add_f32 v4, v4, v123
	v_dual_fmamk_f32 v15, v72, 0x3f737871, v57 :: v_dual_add_f32 v76, v91, v93
	v_fma_f32 v89, -0.5, v89, v28
	v_fma_f32 v28, -0.5, v99, v28
	s_delay_alu instid0(VALU_DEP_4)
	v_dual_add_f32 v4, v6, v4 :: v_dual_fmac_f32 v25, 0x3f737871, v70
	v_dual_add_f32 v91, v115, v121 :: v_dual_fmac_f32 v26, 0xbf167918, v95
	v_fma_f32 v77, -0.5, v77, v38
	v_fma_f32 v94, -0.5, v130, v41
	v_fmac_f32_e32 v57, 0xbf737871, v72
	v_dual_add_f32 v7, v7, v3 :: v_dual_fmac_f32 v134, 0x3f167918, v10
	v_dual_fmamk_f32 v133, v116, 0xbf737871, v55 :: v_dual_add_f32 v6, v19, v16
	v_dual_fmac_f32 v11, 0xbf167918, v72 :: v_dual_fmac_f32 v42, 0xbf167918, v10
	v_dual_add_f32 v1, v31, v27 :: v_dual_add_f32 v20, v100, v101
	v_dual_add_f32 v31, v41, v31 :: v_dual_add_f32 v14, v14, v0
	v_fmamk_f32 v132, v118, 0x3f737871, v65
	v_fmac_f32_e32 v65, 0xbf737871, v118
	v_dual_fmac_f32 v55, 0x3f737871, v116 :: v_dual_fmamk_f32 v96, v131, 0x3f737871, v94
	v_fmamk_f32 v135, v10, 0x3f737871, v29
	v_fmac_f32_e32 v29, 0xbf737871, v10
	v_fmac_f32_e32 v15, 0xbf167918, v70
	v_fmamk_f32 v10, v124, 0x3f737871, v28
	v_fmac_f32_e32 v28, 0xbf737871, v124
	v_fmac_f32_e32 v94, 0xbf737871, v131
	v_dual_sub_f32 v0, v7, v8 :: v_dual_fmac_f32 v133, 0xbf167918, v118
	v_dual_fmac_f32 v11, 0x3e9e377a, v18 :: v_dual_fmac_f32 v26, 0x3e9e377a, v21
	v_fmac_f32_e32 v25, 0x3f167918, v72
	v_fmamk_f32 v72, v78, 0x3f737871, v77
	v_fmac_f32_e32 v57, 0x3f167918, v70
	v_fmamk_f32 v70, v68, 0xbf737871, v67
	v_dual_fmac_f32 v127, 0x3f167918, v85 :: v_dual_fmac_f32 v28, 0x3f167918, v122
	v_fma_f32 v41, -0.5, v1, v41
	v_dual_fmac_f32 v13, 0x3f167918, v95 :: v_dual_fmac_f32 v96, 0x3f167918, v128
	v_dual_sub_f32 v1, v14, v2 :: v_dual_fmac_f32 v62, 0x3e9e377a, v59
	s_delay_alu instid0(VALU_DEP_4) | instskip(SKIP_3) | instid1(VALU_DEP_3)
	v_fmac_f32_e32 v127, 0x3e9e377a, v59
	v_dual_fmac_f32 v70, 0xbf167918, v69 :: v_dual_add_f32 v59, v17, v6
	v_fmac_f32_e32 v72, 0x3f167918, v80
	v_fmac_f32_e32 v94, 0xbf167918, v128
	v_dual_fmac_f32 v133, 0x3e9e377a, v22 :: v_dual_fmac_f32 v70, 0x3e9e377a, v61
	v_dual_add_f32 v87, v97, v98 :: v_dual_fmac_f32 v132, 0xbf167918, v116
	v_dual_fmac_f32 v15, 0x3e9e377a, v24 :: v_dual_fmac_f32 v134, 0x3e9e377a, v30
	v_dual_fmac_f32 v13, 0x3e9e377a, v21 :: v_dual_fmac_f32 v72, 0x3e9e377a, v66
	s_delay_alu instid0(VALU_DEP_4)
	v_mul_f32_e32 v6, 0xbf4f1bbd, v133
	v_fmac_f32_e32 v65, 0x3f167918, v116
	v_fma_f32 v93, -0.5, v129, v38
	v_dual_add_f32 v3, v14, v2 :: v_dual_fmac_f32 v132, 0x3e9e377a, v64
	v_dual_fmac_f32 v57, 0x3e9e377a, v24 :: v_dual_fmac_f32 v42, 0x3e9e377a, v30
	v_fmac_f32_e32 v10, 0xbf167918, v122
	v_dual_add_f32 v30, v5, v4 :: v_dual_fmac_f32 v29, 0xbf167918, v117
	v_fmac_f32_e32 v6, 0x3f167918, v13
	s_delay_alu instid0(VALU_DEP_3) | instskip(SKIP_3) | instid1(VALU_DEP_4)
	v_dual_fmac_f32 v65, 0x3e9e377a, v64 :: v_dual_fmac_f32 v10, 0x3e9e377a, v87
	v_dual_fmamk_f32 v9, v122, 0xbf737871, v89 :: v_dual_mul_f32 v14, 0xbf737871, v132
	v_dual_fmac_f32 v25, 0x3e9e377a, v18 :: v_dual_fmac_f32 v28, 0x3e9e377a, v87
	v_fmamk_f32 v95, v80, 0xbf737871, v93
	v_mul_f32_e32 v16, 0x3e9e377a, v65
	v_fmac_f32_e32 v93, 0x3f737871, v80
	v_fma_f32 v83, -0.5, v125, v83
	v_add_f32_e32 v2, v7, v8
	v_fmac_f32_e32 v9, 0xbf167918, v124
	v_fmac_f32_e32 v16, 0x3f737871, v62
	;; [unrolled: 1-line block ×3, first 2 shown]
	v_dual_fmac_f32 v14, 0xbe9e377a, v127 :: v_dual_sub_f32 v5, v11, v6
	v_fmac_f32_e32 v135, 0x3f167918, v117
	v_fmac_f32_e32 v29, 0x3e9e377a, v12
	s_delay_alu instid0(VALU_DEP_4)
	v_fmac_f32_e32 v93, 0x3e9e377a, v84
	v_fmac_f32_e32 v9, 0x3e9e377a, v74
	v_mul_f32_e32 v7, 0xbf167918, v133
	v_fmac_f32_e32 v135, 0x3e9e377a, v12
	v_mul_f32_e32 v12, 0xbe9e377a, v132
	v_fmamk_f32 v85, v69, 0x3f737871, v83
	v_mul_f32_e32 v64, 0xbf167918, v9
	v_fmac_f32_e32 v7, 0xbf4f1bbd, v13
	s_delay_alu instid0(VALU_DEP_4) | instskip(NEXT) | instid1(VALU_DEP_4)
	v_dual_fmac_f32 v67, 0x3f737871, v68 :: v_dual_fmac_f32 v12, 0x3f737871, v127
	v_fmac_f32_e32 v85, 0xbf167918, v68
	s_delay_alu instid0(VALU_DEP_4) | instskip(NEXT) | instid1(VALU_DEP_4)
	v_fmac_f32_e32 v64, 0xbf4f1bbd, v72
	v_dual_fmac_f32 v55, 0x3f167918, v118 :: v_dual_sub_f32 v4, v135, v7
	v_mul_f32_e32 v19, 0xbf737871, v65
	v_mul_f32_e32 v65, 0xbf737871, v10
	s_delay_alu instid0(VALU_DEP_3) | instskip(NEXT) | instid1(VALU_DEP_3)
	v_dual_fmac_f32 v96, 0x3e9e377a, v20 :: v_dual_fmac_f32 v55, 0x3e9e377a, v22
	v_dual_add_f32 v22, v31, v23 :: v_dual_fmac_f32 v19, 0x3e9e377a, v62
	v_fmac_f32_e32 v77, 0xbf737871, v78
	v_mul_f32_e32 v62, 0x3e9e377a, v28
	s_delay_alu instid0(VALU_DEP_4)
	v_mul_f32_e32 v21, 0xbf167918, v55
	v_mul_f32_e32 v18, 0x3f4f1bbd, v55
	;; [unrolled: 1-line block ×3, first 2 shown]
	v_add_f32_e32 v9, v11, v6
	v_sub_f32_e32 v6, v134, v14
	v_dual_add_f32 v14, v134, v14 :: v_dual_fmac_f32 v67, 0x3f167918, v69
	v_fmac_f32_e32 v89, 0x3f737871, v122
	v_sub_f32_e32 v11, v57, v16
	v_dual_add_f32 v17, v57, v16 :: v_dual_add_f32 v16, v42, v19
	s_delay_alu instid0(VALU_DEP_4)
	v_fmac_f32_e32 v67, 0x3e9e377a, v61
	v_dual_mul_f32 v61, 0xbe9e377a, v10 :: v_dual_sub_f32 v10, v42, v19
	v_fmac_f32_e32 v77, 0xbf167918, v80
	v_fmac_f32_e32 v94, 0x3e9e377a, v20
	v_add_f32_e32 v22, v22, v44
	v_add_f32_e32 v20, v46, v38
	s_delay_alu instid0(VALU_DEP_1) | instskip(NEXT) | instid1(VALU_DEP_3)
	v_add_f32_e32 v20, v50, v20
	v_add_f32_e32 v50, v27, v22
	s_wait_loadcnt 0x4
	v_dual_mul_f32 v24, v60, v35 :: v_dual_fmac_f32 v77, 0x3e9e377a, v66
	v_dual_mul_f32 v66, 0xbf737871, v28 :: v_dual_mul_f32 v35, v92, v35
	v_fmac_f32_e32 v95, 0x3f167918, v78
	s_wait_loadcnt 0x3
	v_mul_f32_e32 v31, v56, v106
	s_wait_loadcnt 0x1
	v_mul_f32_e32 v42, v58, v114
	v_fmac_f32_e32 v66, 0x3e9e377a, v93
	v_dual_fmac_f32 v83, 0xbf737871, v69 :: v_dual_add_f32 v8, v135, v7
	v_fmac_f32_e32 v35, v60, v34
	v_fmac_f32_e32 v95, 0x3e9e377a, v84
	v_sub_f32_e32 v7, v15, v12
	s_delay_alu instid0(VALU_DEP_4)
	v_fmac_f32_e32 v83, 0x3f167918, v68
	v_fma_f32 v68, v34, v92, -v24
	v_mul_f32_e32 v34, v54, v110
	v_fmac_f32_e32 v21, 0x3f4f1bbd, v26
	v_fmamk_f32 v97, v128, 0xbf737871, v41
	v_add_f32_e32 v15, v15, v12
	v_fma_f32 v60, v105, v88, -v31
	v_fmac_f32_e32 v18, 0x3f167918, v26
	s_delay_alu instid0(VALU_DEP_4) | instskip(SKIP_1) | instid1(VALU_DEP_4)
	v_dual_sub_f32 v12, v29, v21 :: v_dual_fmac_f32 v97, 0x3f167918, v131
	v_dual_add_f32 v26, v48, v20 :: v_dual_fmac_f32 v65, 0xbe9e377a, v95
	v_sub_f32_e32 v44, v68, v60
	v_fma_f32 v69, v113, v90, -v42
	s_delay_alu instid0(VALU_DEP_4) | instskip(NEXT) | instid1(VALU_DEP_4)
	v_fmac_f32_e32 v97, 0x3e9e377a, v91
	v_dual_fmac_f32 v89, 0x3f167918, v124 :: v_dual_add_f32 v48, v63, v26
	v_fma_f32 v63, v109, v86, -v34
	s_delay_alu instid0(VALU_DEP_3) | instskip(NEXT) | instid1(VALU_DEP_3)
	v_dual_fmac_f32 v61, 0x3f737871, v95 :: v_dual_sub_f32 v22, v97, v65
	v_fmac_f32_e32 v89, 0x3e9e377a, v74
	s_delay_alu instid0(VALU_DEP_3) | instskip(SKIP_1) | instid1(VALU_DEP_3)
	v_dual_fmac_f32 v41, 0x3f737871, v128 :: v_dual_add_f32 v42, v60, v63
	v_dual_fmac_f32 v83, 0x3e9e377a, v76 :: v_dual_mul_f32 v74, v108, v81
	v_dual_mul_f32 v38, 0xbf167918, v89 :: v_dual_sub_f32 v13, v25, v18
	v_add_f32_e32 v19, v25, v18
	v_add_f32_e32 v18, v29, v21
	s_delay_alu instid0(VALU_DEP_4) | instskip(NEXT) | instid1(VALU_DEP_4)
	v_fmac_f32_e32 v74, v51, v107
	v_fmac_f32_e32 v38, 0x3f4f1bbd, v77
	;; [unrolled: 1-line block ×3, first 2 shown]
	v_dual_fmac_f32 v41, 0xbf167918, v131 :: v_dual_sub_f32 v20, v96, v64
	v_mul_f32_e32 v76, v112, v79
	s_delay_alu instid0(VALU_DEP_3) | instskip(SKIP_2) | instid1(VALU_DEP_4)
	v_dual_sub_f32 v26, v94, v38 :: v_dual_sub_f32 v23, v85, v61
	v_dual_add_f32 v34, v85, v61 :: v_dual_mul_f32 v61, v88, v106
	v_fmac_f32_e32 v62, 0x3f737871, v93
	v_fmac_f32_e32 v76, v49, v111
	v_sub_f32_e32 v46, v69, v63
	s_delay_alu instid0(VALU_DEP_4) | instskip(SKIP_4) | instid1(VALU_DEP_4)
	v_dual_sub_f32 v28, v50, v48 :: v_dual_fmac_f32 v61, v56, v105
	v_dual_mul_f32 v56, v104, v71 :: v_dual_fmac_f32 v55, 0x3f167918, v72
	v_fma_f32 v72, -0.5, v42, v82
	v_mul_f32_e32 v42, v51, v108
	v_mul_f32_e32 v51, v49, v112
	v_fmac_f32_e32 v56, v45, v103
	v_sub_f32_e32 v21, v70, v55
	v_add_f32_e32 v31, v70, v55
	v_dual_mul_f32 v70, v90, v114 :: v_dual_fmac_f32 v41, 0x3e9e377a, v91
	v_sub_f32_e32 v25, v83, v62
	v_fma_f32 v49, v107, v81, -v42
	v_mul_f32_e32 v42, v45, v104
	s_delay_alu instid0(VALU_DEP_4) | instskip(SKIP_2) | instid1(VALU_DEP_2)
	v_fmac_f32_e32 v70, v58, v113
	v_mul_f32_e32 v58, v86, v110
	v_dual_add_f32 v45, v74, v76 :: v_dual_sub_f32 v24, v41, v66
	v_fmac_f32_e32 v58, v54, v109
	s_wait_loadcnt 0x0
	v_mul_f32_e32 v54, v120, v73
	s_delay_alu instid0(VALU_DEP_1) | instskip(NEXT) | instid1(VALU_DEP_1)
	v_dual_mul_f32 v57, 0x3f4f1bbd, v89 :: v_dual_fmac_f32 v54, v47, v119
	v_fmac_f32_e32 v57, 0x3f167918, v77
	v_mul_f32_e32 v77, v33, v75
	v_mul_f32_e32 v33, v43, v33
	s_delay_alu instid0(VALU_DEP_2) | instskip(SKIP_3) | instid1(VALU_DEP_4)
	v_fmac_f32_e32 v77, v43, v32
	v_mul_f32_e32 v43, v47, v120
	v_fma_f32 v47, v103, v71, -v42
	v_sub_f32_e32 v42, v56, v74
	v_fma_f32 v78, -0.5, v45, v77
	s_delay_alu instid0(VALU_DEP_4) | instskip(SKIP_1) | instid1(VALU_DEP_1)
	v_fma_f32 v71, v119, v73, -v43
	v_sub_f32_e32 v45, v54, v76
	v_dual_add_f32 v89, v42, v45 :: v_dual_add_f32 v42, v83, v62
	v_add_f32_e32 v62, v44, v46
	v_fma_f32 v51, v111, v79, -v51
	v_sub_f32_e32 v79, v47, v71
	v_sub_f32_e32 v29, v30, v59
	v_add_f32_e32 v46, v30, v59
	s_delay_alu instid0(VALU_DEP_4) | instskip(NEXT) | instid1(VALU_DEP_4)
	v_dual_add_f32 v30, v96, v64 :: v_dual_sub_f32 v85, v49, v51
	v_fmamk_f32 v84, v79, 0x3f737871, v78
	v_fma_f32 v32, v32, v75, -v33
	v_add_f32_e32 v33, v49, v51
	v_dual_sub_f32 v75, v56, v54 :: v_dual_sub_f32 v64, v63, v69
	s_delay_alu instid0(VALU_DEP_4) | instskip(SKIP_4) | instid1(VALU_DEP_3)
	v_dual_fmac_f32 v84, 0x3f167918, v85 :: v_dual_sub_f32 v55, v35, v70
	v_add_f32_e32 v45, v50, v48
	v_sub_f32_e32 v50, v60, v68
	v_fma_f32 v73, -0.5, v33, v32
	v_dual_sub_f32 v81, v74, v76 :: v_dual_sub_f32 v90, v51, v71
	v_dual_sub_f32 v43, v71, v51 :: v_dual_add_f32 v50, v50, v64
	v_dual_sub_f32 v33, v47, v49 :: v_dual_sub_f32 v88, v61, v58
	s_delay_alu instid0(VALU_DEP_4) | instskip(SKIP_1) | instid1(VALU_DEP_3)
	v_dual_fmamk_f32 v80, v75, 0xbf737871, v73 :: v_dual_add_f32 v59, v56, v54
	v_fmac_f32_e32 v78, 0xbf737871, v79
	v_dual_add_f32 v86, v33, v43 :: v_dual_add_f32 v43, v94, v38
	v_add_f32_e32 v38, v68, v69
	v_sub_f32_e32 v27, v67, v57
	v_add_f32_e32 v44, v67, v57
	v_dual_add_f32 v57, v47, v71 :: v_dual_fmac_f32 v80, 0xbf167918, v81
	s_delay_alu instid0(VALU_DEP_4) | instskip(SKIP_2) | instid1(VALU_DEP_4)
	v_fma_f32 v38, -0.5, v38, v82
	v_fmamk_f32 v87, v55, 0xbf737871, v72
	v_fma_f32 v67, -0.5, v59, v77
	v_dual_sub_f32 v59, v49, v47 :: v_dual_fmac_f32 v80, 0x3e9e377a, v86
	s_delay_alu instid0(VALU_DEP_4) | instskip(SKIP_3) | instid1(VALU_DEP_3)
	v_fmamk_f32 v93, v88, 0x3f737871, v38
	v_dual_fmac_f32 v38, 0xbf737871, v88 :: v_dual_add_f32 v41, v41, v66
	v_fma_f32 v66, -0.5, v57, v32
	v_dual_sub_f32 v57, v76, v54 :: v_dual_add_f32 v32, v47, v32
	v_fmac_f32_e32 v38, 0x3f167918, v55
	v_fmac_f32_e32 v78, 0xbf167918, v85
	v_fmamk_f32 v92, v85, 0xbf737871, v67
	v_fmac_f32_e32 v72, 0x3f737871, v55
	v_add_f32_e32 v32, v49, v32
	v_fmamk_f32 v91, v81, 0x3f737871, v66
	v_fmac_f32_e32 v66, 0xbf737871, v81
	v_fmac_f32_e32 v38, 0x3e9e377a, v50
	;; [unrolled: 1-line block ×3, first 2 shown]
	v_add_f32_e32 v32, v51, v32
	v_fmac_f32_e32 v72, 0x3f167918, v88
	v_dual_fmac_f32 v66, 0x3f167918, v75 :: v_dual_add_f32 v59, v59, v90
	v_fmac_f32_e32 v78, 0x3e9e377a, v89
	s_delay_alu instid0(VALU_DEP_4) | instskip(SKIP_3) | instid1(VALU_DEP_4)
	v_dual_add_f32 v32, v71, v32 :: v_dual_fmac_f32 v93, 0xbf167918, v55
	v_fmac_f32_e32 v84, 0x3e9e377a, v89
	v_fmac_f32_e32 v72, 0x3e9e377a, v62
	v_dual_fmac_f32 v66, 0x3e9e377a, v59 :: v_dual_add_f32 v49, v35, v70
	v_fmac_f32_e32 v93, 0x3e9e377a, v50
	v_dual_fmac_f32 v91, 0xbf167918, v75 :: v_dual_add_f32 v50, v68, v82
	v_fmac_f32_e32 v87, 0xbf167918, v88
	v_mul_f32_e32 v83, 0xbf4f1bbd, v80
	v_fma_f32 v71, -0.5, v49, v40
	s_delay_alu instid0(VALU_DEP_4)
	v_fmac_f32_e32 v91, 0x3e9e377a, v59
	v_add_f32_e32 v33, v97, v65
	v_sub_f32_e32 v65, v74, v56
	v_add_f32_e32 v47, v60, v50
	v_fmac_f32_e32 v87, 0x3e9e377a, v62
	v_dual_sub_f32 v49, v70, v58 :: v_dual_sub_f32 v60, v60, v63
	s_delay_alu instid0(VALU_DEP_4) | instskip(NEXT) | instid1(VALU_DEP_1)
	v_add_f32_e32 v57, v65, v57
	v_dual_fmac_f32 v92, 0x3e9e377a, v57 :: v_dual_add_f32 v47, v63, v47
	s_delay_alu instid0(VALU_DEP_1) | instskip(SKIP_1) | instid1(VALU_DEP_1)
	v_add_f32_e32 v51, v69, v47
	v_add_f32_e32 v47, v61, v58
	v_fma_f32 v62, -0.5, v47, v40
	v_sub_f32_e32 v47, v68, v69
	v_dual_sub_f32 v68, v35, v61 :: v_dual_fmac_f32 v83, 0x3f167918, v84
	v_sub_f32_e32 v69, v58, v70
	s_delay_alu instid0(VALU_DEP_2)
	v_add_f32_e32 v49, v68, v49
	v_sub_f32_e32 v63, v61, v35
	v_add_f32_e32 v35, v40, v35
	v_add_f32_e32 v40, v56, v77
	v_fmac_f32_e32 v67, 0x3f737871, v85
	v_mul_f32_e32 v64, 0xbe9e377a, v91
	s_delay_alu instid0(VALU_DEP_4) | instskip(NEXT) | instid1(VALU_DEP_3)
	v_dual_mul_f32 v68, 0xbf167918, v80 :: v_dual_add_f32 v35, v35, v61
	v_dual_add_f32 v40, v74, v40 :: v_dual_fmac_f32 v67, 0xbf167918, v79
	v_fmamk_f32 v79, v47, 0x3f737871, v62
	v_fmac_f32_e32 v62, 0xbf737871, v47
	v_dual_mul_f32 v74, 0xbf737871, v66 :: v_dual_sub_f32 v59, v51, v32
	s_delay_alu instid0(VALU_DEP_4) | instskip(NEXT) | instid1(VALU_DEP_3)
	v_dual_add_f32 v40, v76, v40 :: v_dual_fmac_f32 v73, 0x3f737871, v75
	v_dual_fmac_f32 v62, 0xbf167918, v60 :: v_dual_add_f32 v35, v35, v58
	v_fmac_f32_e32 v79, 0x3f167918, v60
	s_delay_alu instid0(VALU_DEP_3) | instskip(SKIP_1) | instid1(VALU_DEP_4)
	v_add_f32_e32 v40, v54, v40
	v_fmac_f32_e32 v64, 0x3f737871, v92
	v_fmac_f32_e32 v62, 0x3e9e377a, v49
	;; [unrolled: 1-line block ×3, first 2 shown]
	v_fmamk_f32 v81, v60, 0xbf737871, v71
	v_fmac_f32_e32 v71, 0x3f737871, v60
	v_add_f32_e32 v63, v63, v69
	v_add_f32_e32 v35, v70, v35
	v_fmac_f32_e32 v73, 0x3e9e377a, v86
	v_mul_hi_u32 v60, 0x1b4e81b5, v102
	v_fmac_f32_e32 v71, 0xbf167918, v47
	s_delay_alu instid0(VALU_DEP_4) | instskip(SKIP_1) | instid1(VALU_DEP_3)
	v_dual_fmac_f32 v79, 0x3e9e377a, v49 :: v_dual_sub_f32 v58, v35, v40
	v_fmac_f32_e32 v68, 0xbf4f1bbd, v84
	v_dual_sub_f32 v50, v93, v64 :: v_dual_fmac_f32 v71, 0x3e9e377a, v63
	v_fmac_f32_e32 v67, 0x3e9e377a, v57
	v_mul_f32_e32 v65, 0x3e9e377a, v66
	v_mul_f32_e32 v66, 0xbf167918, v73
	;; [unrolled: 1-line block ×3, first 2 shown]
	v_lshrrev_b32_e32 v60, 5, v60
	v_fmac_f32_e32 v74, 0x3e9e377a, v67
	v_add_nc_u32_e32 v70, 0x64, v102
	v_dual_fmac_f32 v66, 0x3f4f1bbd, v78 :: v_dual_add_f32 v69, v51, v32
	v_lshlrev_b64_e32 v[51:52], 3, v[52:53]
	s_delay_alu instid0(VALU_DEP_4) | instskip(NEXT) | instid1(VALU_DEP_3)
	v_dual_sub_f32 v54, v71, v74 :: v_dual_fmac_f32 v65, 0x3f737871, v67
	v_sub_f32_e32 v56, v62, v66
	v_dual_add_f32 v66, v62, v66 :: v_dual_fmac_f32 v81, 0x3f167918, v47
	v_fmac_f32_e32 v75, 0x3f167918, v78
	v_dual_sub_f32 v47, v79, v68 :: v_dual_mul_f32 v80, 0xbf737871, v91
	v_add_f32_e32 v61, v87, v83
	s_delay_alu instid0(VALU_DEP_4)
	v_fmac_f32_e32 v81, 0x3e9e377a, v63
	v_add_f32_e32 v63, v93, v64
	v_mul_u32_u24_e32 v64, 0x12c, v60
	v_dual_add_f32 v60, v79, v68 :: v_dual_sub_f32 v55, v38, v65
	v_add_f32_e32 v65, v38, v65
	v_mul_hi_u32 v38, 0x1b4e81b5, v70
	v_add_f32_e32 v68, v35, v40
	v_lshlrev_b64_e32 v[35:36], 3, v[36:37]
	v_sub_nc_u32_e32 v32, v102, v64
	v_sub_f32_e32 v57, v72, v75
	v_dual_add_f32 v67, v72, v75 :: v_dual_fmac_f32 v80, 0xbe9e377a, v92
	v_sub_f32_e32 v48, v87, v83
	v_lshrrev_b32_e32 v37, 5, v38
	v_add_co_u32 v38, vcc_lo, s6, v51
	s_wait_alu 0xfffd
	v_add_co_ci_u32_e32 v40, vcc_lo, s7, v52, vcc_lo
	s_delay_alu instid0(VALU_DEP_3)
	v_mul_u32_u24_e32 v51, 0x12c, v37
	v_lshlrev_b32_e32 v32, 3, v32
	v_add_co_u32 v72, vcc_lo, v38, v35
	s_wait_alu 0xfffd
	v_add_co_ci_u32_e32 v73, vcc_lo, v40, v36, vcc_lo
	v_sub_nc_u32_e32 v38, v70, v51
	s_delay_alu instid0(VALU_DEP_3) | instskip(SKIP_1) | instid1(VALU_DEP_3)
	v_add_co_u32 v35, vcc_lo, v72, v32
	s_wait_alu 0xfffd
	v_add_co_ci_u32_e32 v36, vcc_lo, 0, v73, vcc_lo
	s_delay_alu instid0(VALU_DEP_3) | instskip(SKIP_2) | instid1(VALU_DEP_3)
	v_mad_u32_u24 v38, 0xbb8, v37, v38
	v_dual_sub_f32 v49, v81, v80 :: v_dual_add_f32 v64, v71, v74
	v_add_f32_e32 v62, v81, v80
	v_dual_mov_b32 v52, v39 :: v_dual_add_nc_u32 v51, 0x12c, v38
	s_clause 0x7
	global_store_b64 v[35:36], v[68:69], off
	global_store_b64 v[35:36], v[66:67], off offset:2400
	global_store_b64 v[35:36], v[64:65], off offset:4800
	;; [unrolled: 1-line block ×7, first 2 shown]
	v_lshlrev_b64_e32 v[53:54], 3, v[38:39]
	s_clause 0x1
	global_store_b64 v[35:36], v[49:50], off offset:19200
	global_store_b64 v[35:36], v[47:48], off offset:21600
	v_dual_mov_b32 v48, v39 :: v_dual_add_nc_u32 v47, 0x258, v38
	v_lshlrev_b64_e32 v[35:36], 3, v[51:52]
	v_add_nc_u32_e32 v51, 0x384, v38
	v_add_co_u32 v49, vcc_lo, v72, v53
	s_delay_alu instid0(VALU_DEP_4)
	v_lshlrev_b64_e32 v[47:48], 3, v[47:48]
	s_wait_alu 0xfffd
	v_add_co_ci_u32_e32 v50, vcc_lo, v73, v54, vcc_lo
	v_add_co_u32 v35, vcc_lo, v72, v35
	v_lshlrev_b64_e32 v[51:52], 3, v[51:52]
	s_wait_alu 0xfffd
	v_add_co_ci_u32_e32 v36, vcc_lo, v73, v36, vcc_lo
	v_add_co_u32 v47, vcc_lo, v72, v47
	s_wait_alu 0xfffd
	v_add_co_ci_u32_e32 v48, vcc_lo, v73, v48, vcc_lo
	v_add_co_u32 v51, vcc_lo, v72, v51
	s_wait_alu 0xfffd
	v_add_co_ci_u32_e32 v52, vcc_lo, v73, v52, vcc_lo
	s_clause 0x3
	global_store_b64 v[49:50], v[45:46], off
	global_store_b64 v[35:36], v[43:44], off
	;; [unrolled: 1-line block ×4, first 2 shown]
	v_add_nc_u32_e32 v46, 0xc8, v102
	v_add_nc_u32_e32 v53, 0x4b0, v38
	;; [unrolled: 1-line block ×5, first 2 shown]
	v_mul_hi_u32 v44, 0x1b4e81b5, v46
	v_add_nc_u32_e32 v42, 0x960, v38
	v_add_nc_u32_e32 v38, 0xa8c, v38
	v_mov_b32_e32 v54, v39
	s_delay_alu instid0(VALU_DEP_4) | instskip(NEXT) | instid1(VALU_DEP_3)
	v_lshrrev_b32_e32 v47, 5, v44
	v_lshlrev_b64_e32 v[44:45], 3, v[38:39]
	s_delay_alu instid0(VALU_DEP_3) | instskip(NEXT) | instid1(VALU_DEP_3)
	v_lshlrev_b64_e32 v[53:54], 3, v[53:54]
	v_mul_u32_u24_e32 v48, 0x12c, v47
	s_delay_alu instid0(VALU_DEP_2) | instskip(NEXT) | instid1(VALU_DEP_2)
	v_add_co_u32 v34, vcc_lo, v72, v53
	v_sub_nc_u32_e32 v38, v46, v48
	s_wait_alu 0xfffd
	s_delay_alu instid0(VALU_DEP_4) | instskip(NEXT) | instid1(VALU_DEP_2)
	v_add_co_ci_u32_e32 v35, vcc_lo, v73, v54, vcc_lo
	v_mad_u32_u24 v38, 0xbb8, v47, v38
	v_mov_b32_e32 v33, v39
	v_mov_b32_e32 v37, v39
	;; [unrolled: 1-line block ×3, first 2 shown]
	s_delay_alu instid0(VALU_DEP_4) | instskip(NEXT) | instid1(VALU_DEP_4)
	v_dual_mov_b32 v43, v39 :: v_dual_add_nc_u32 v46, 0x12c, v38
	v_lshlrev_b64_e32 v[32:33], 3, v[32:33]
	s_delay_alu instid0(VALU_DEP_4) | instskip(NEXT) | instid1(VALU_DEP_4)
	v_lshlrev_b64_e32 v[36:37], 3, v[36:37]
	v_lshlrev_b64_e32 v[40:41], 3, v[40:41]
	s_delay_alu instid0(VALU_DEP_4)
	v_lshlrev_b64_e32 v[42:43], 3, v[42:43]
	v_mov_b32_e32 v47, v39
	v_add_co_u32 v32, vcc_lo, v72, v32
	s_wait_alu 0xfffd
	v_add_co_ci_u32_e32 v33, vcc_lo, v73, v33, vcc_lo
	v_add_co_u32 v36, vcc_lo, v72, v36
	s_wait_alu 0xfffd
	v_add_co_ci_u32_e32 v37, vcc_lo, v73, v37, vcc_lo
	v_add_co_u32 v40, vcc_lo, v72, v40
	s_wait_alu 0xfffd
	v_add_co_ci_u32_e32 v41, vcc_lo, v73, v41, vcc_lo
	v_add_co_u32 v42, vcc_lo, v72, v42
	s_wait_alu 0xfffd
	v_add_co_ci_u32_e32 v43, vcc_lo, v73, v43, vcc_lo
	v_add_co_u32 v44, vcc_lo, v72, v44
	s_wait_alu 0xfffd
	v_add_co_ci_u32_e32 v45, vcc_lo, v73, v45, vcc_lo
	s_clause 0x3
	global_store_b64 v[34:35], v[30:31], off
	global_store_b64 v[32:33], v[28:29], off
	;; [unrolled: 1-line block ×4, first 2 shown]
	v_lshlrev_b64_e32 v[24:25], 3, v[38:39]
	s_clause 0x1
	global_store_b64 v[42:43], v[22:23], off
	global_store_b64 v[44:45], v[20:21], off
	v_dual_mov_b32 v23, v39 :: v_dual_add_nc_u32 v22, 0x258, v38
	v_lshlrev_b64_e32 v[20:21], 3, v[46:47]
	v_dual_mov_b32 v27, v39 :: v_dual_add_nc_u32 v26, 0x384, v38
	v_add_co_u32 v24, vcc_lo, v72, v24
	s_delay_alu instid0(VALU_DEP_4)
	v_lshlrev_b64_e32 v[22:23], 3, v[22:23]
	s_wait_alu 0xfffd
	v_add_co_ci_u32_e32 v25, vcc_lo, v73, v25, vcc_lo
	v_add_co_u32 v20, vcc_lo, v72, v20
	v_lshlrev_b64_e32 v[26:27], 3, v[26:27]
	s_wait_alu 0xfffd
	v_add_co_ci_u32_e32 v21, vcc_lo, v73, v21, vcc_lo
	v_add_co_u32 v22, vcc_lo, v72, v22
	v_dual_mov_b32 v29, v39 :: v_dual_add_nc_u32 v28, 0x4b0, v38
	s_wait_alu 0xfffd
	v_add_co_ci_u32_e32 v23, vcc_lo, v73, v23, vcc_lo
	v_add_co_u32 v26, vcc_lo, v72, v26
	v_dual_mov_b32 v31, v39 :: v_dual_add_nc_u32 v30, 0x5dc, v38
	s_wait_alu 0xfffd
	v_add_co_ci_u32_e32 v27, vcc_lo, v73, v27, vcc_lo
	v_lshlrev_b64_e32 v[28:29], 3, v[28:29]
	s_clause 0x3
	global_store_b64 v[24:25], v[2:3], off
	global_store_b64 v[20:21], v[18:19], off
	;; [unrolled: 1-line block ×4, first 2 shown]
	v_dual_mov_b32 v15, v39 :: v_dual_add_nc_u32 v14, 0x708, v38
	v_lshlrev_b64_e32 v[2:3], 3, v[30:31]
	v_dual_mov_b32 v19, v39 :: v_dual_add_nc_u32 v18, 0x834, v38
	v_add_co_u32 v16, vcc_lo, v72, v28
	s_delay_alu instid0(VALU_DEP_4)
	v_lshlrev_b64_e32 v[14:15], 3, v[14:15]
	v_add_nc_u32_e32 v20, 0x960, v38
	v_dual_mov_b32 v21, v39 :: v_dual_add_nc_u32 v38, 0xa8c, v38
	s_wait_alu 0xfffd
	v_add_co_ci_u32_e32 v17, vcc_lo, v73, v29, vcc_lo
	v_add_co_u32 v2, vcc_lo, v72, v2
	v_lshlrev_b64_e32 v[18:19], 3, v[18:19]
	s_wait_alu 0xfffd
	v_add_co_ci_u32_e32 v3, vcc_lo, v73, v3, vcc_lo
	v_add_co_u32 v14, vcc_lo, v72, v14
	v_lshlrev_b64_e32 v[20:21], 3, v[20:21]
	;; [unrolled: 4-line block ×3, first 2 shown]
	s_wait_alu 0xfffd
	v_add_co_ci_u32_e32 v19, vcc_lo, v73, v19, vcc_lo
	v_add_co_u32 v20, vcc_lo, v72, v20
	s_wait_alu 0xfffd
	v_add_co_ci_u32_e32 v21, vcc_lo, v73, v21, vcc_lo
	v_add_co_u32 v22, vcc_lo, v72, v22
	s_wait_alu 0xfffd
	v_add_co_ci_u32_e32 v23, vcc_lo, v73, v23, vcc_lo
	s_clause 0x5
	global_store_b64 v[16:17], v[8:9], off
	global_store_b64 v[2:3], v[0:1], off
	;; [unrolled: 1-line block ×6, first 2 shown]
.LBB0_15:
	s_nop 0
	s_sendmsg sendmsg(MSG_DEALLOC_VGPRS)
	s_endpgm
	.section	.rodata,"a",@progbits
	.p2align	6, 0x0
	.amdhsa_kernel fft_rtc_back_len3000_factors_10_3_10_10_wgs_100_tpt_100_halfLds_sp_op_CI_CI_unitstride_sbrr_dirReg
		.amdhsa_group_segment_fixed_size 0
		.amdhsa_private_segment_fixed_size 0
		.amdhsa_kernarg_size 104
		.amdhsa_user_sgpr_count 2
		.amdhsa_user_sgpr_dispatch_ptr 0
		.amdhsa_user_sgpr_queue_ptr 0
		.amdhsa_user_sgpr_kernarg_segment_ptr 1
		.amdhsa_user_sgpr_dispatch_id 0
		.amdhsa_user_sgpr_private_segment_size 0
		.amdhsa_wavefront_size32 1
		.amdhsa_uses_dynamic_stack 0
		.amdhsa_enable_private_segment 0
		.amdhsa_system_sgpr_workgroup_id_x 1
		.amdhsa_system_sgpr_workgroup_id_y 0
		.amdhsa_system_sgpr_workgroup_id_z 0
		.amdhsa_system_sgpr_workgroup_info 0
		.amdhsa_system_vgpr_workitem_id 0
		.amdhsa_next_free_vgpr 141
		.amdhsa_next_free_sgpr 39
		.amdhsa_reserve_vcc 1
		.amdhsa_float_round_mode_32 0
		.amdhsa_float_round_mode_16_64 0
		.amdhsa_float_denorm_mode_32 3
		.amdhsa_float_denorm_mode_16_64 3
		.amdhsa_fp16_overflow 0
		.amdhsa_workgroup_processor_mode 1
		.amdhsa_memory_ordered 1
		.amdhsa_forward_progress 0
		.amdhsa_round_robin_scheduling 0
		.amdhsa_exception_fp_ieee_invalid_op 0
		.amdhsa_exception_fp_denorm_src 0
		.amdhsa_exception_fp_ieee_div_zero 0
		.amdhsa_exception_fp_ieee_overflow 0
		.amdhsa_exception_fp_ieee_underflow 0
		.amdhsa_exception_fp_ieee_inexact 0
		.amdhsa_exception_int_div_zero 0
	.end_amdhsa_kernel
	.text
.Lfunc_end0:
	.size	fft_rtc_back_len3000_factors_10_3_10_10_wgs_100_tpt_100_halfLds_sp_op_CI_CI_unitstride_sbrr_dirReg, .Lfunc_end0-fft_rtc_back_len3000_factors_10_3_10_10_wgs_100_tpt_100_halfLds_sp_op_CI_CI_unitstride_sbrr_dirReg
                                        ; -- End function
	.section	.AMDGPU.csdata,"",@progbits
; Kernel info:
; codeLenInByte = 17824
; NumSgprs: 41
; NumVgprs: 141
; ScratchSize: 0
; MemoryBound: 0
; FloatMode: 240
; IeeeMode: 1
; LDSByteSize: 0 bytes/workgroup (compile time only)
; SGPRBlocks: 5
; VGPRBlocks: 17
; NumSGPRsForWavesPerEU: 41
; NumVGPRsForWavesPerEU: 141
; Occupancy: 10
; WaveLimiterHint : 1
; COMPUTE_PGM_RSRC2:SCRATCH_EN: 0
; COMPUTE_PGM_RSRC2:USER_SGPR: 2
; COMPUTE_PGM_RSRC2:TRAP_HANDLER: 0
; COMPUTE_PGM_RSRC2:TGID_X_EN: 1
; COMPUTE_PGM_RSRC2:TGID_Y_EN: 0
; COMPUTE_PGM_RSRC2:TGID_Z_EN: 0
; COMPUTE_PGM_RSRC2:TIDIG_COMP_CNT: 0
	.text
	.p2alignl 7, 3214868480
	.fill 96, 4, 3214868480
	.type	__hip_cuid_ef0ebb8e4d2826fa,@object ; @__hip_cuid_ef0ebb8e4d2826fa
	.section	.bss,"aw",@nobits
	.globl	__hip_cuid_ef0ebb8e4d2826fa
__hip_cuid_ef0ebb8e4d2826fa:
	.byte	0                               ; 0x0
	.size	__hip_cuid_ef0ebb8e4d2826fa, 1

	.ident	"AMD clang version 19.0.0git (https://github.com/RadeonOpenCompute/llvm-project roc-6.4.0 25133 c7fe45cf4b819c5991fe208aaa96edf142730f1d)"
	.section	".note.GNU-stack","",@progbits
	.addrsig
	.addrsig_sym __hip_cuid_ef0ebb8e4d2826fa
	.amdgpu_metadata
---
amdhsa.kernels:
  - .args:
      - .actual_access:  read_only
        .address_space:  global
        .offset:         0
        .size:           8
        .value_kind:     global_buffer
      - .offset:         8
        .size:           8
        .value_kind:     by_value
      - .actual_access:  read_only
        .address_space:  global
        .offset:         16
        .size:           8
        .value_kind:     global_buffer
      - .actual_access:  read_only
        .address_space:  global
        .offset:         24
        .size:           8
        .value_kind:     global_buffer
      - .actual_access:  read_only
        .address_space:  global
        .offset:         32
        .size:           8
        .value_kind:     global_buffer
      - .offset:         40
        .size:           8
        .value_kind:     by_value
      - .actual_access:  read_only
        .address_space:  global
        .offset:         48
        .size:           8
        .value_kind:     global_buffer
      - .actual_access:  read_only
        .address_space:  global
        .offset:         56
        .size:           8
        .value_kind:     global_buffer
      - .offset:         64
        .size:           4
        .value_kind:     by_value
      - .actual_access:  read_only
        .address_space:  global
        .offset:         72
        .size:           8
        .value_kind:     global_buffer
      - .actual_access:  read_only
        .address_space:  global
        .offset:         80
        .size:           8
        .value_kind:     global_buffer
      - .actual_access:  read_only
        .address_space:  global
        .offset:         88
        .size:           8
        .value_kind:     global_buffer
      - .actual_access:  write_only
        .address_space:  global
        .offset:         96
        .size:           8
        .value_kind:     global_buffer
    .group_segment_fixed_size: 0
    .kernarg_segment_align: 8
    .kernarg_segment_size: 104
    .language:       OpenCL C
    .language_version:
      - 2
      - 0
    .max_flat_workgroup_size: 100
    .name:           fft_rtc_back_len3000_factors_10_3_10_10_wgs_100_tpt_100_halfLds_sp_op_CI_CI_unitstride_sbrr_dirReg
    .private_segment_fixed_size: 0
    .sgpr_count:     41
    .sgpr_spill_count: 0
    .symbol:         fft_rtc_back_len3000_factors_10_3_10_10_wgs_100_tpt_100_halfLds_sp_op_CI_CI_unitstride_sbrr_dirReg.kd
    .uniform_work_group_size: 1
    .uses_dynamic_stack: false
    .vgpr_count:     141
    .vgpr_spill_count: 0
    .wavefront_size: 32
    .workgroup_processor_mode: 1
amdhsa.target:   amdgcn-amd-amdhsa--gfx1201
amdhsa.version:
  - 1
  - 2
...

	.end_amdgpu_metadata
